;; amdgpu-corpus repo=ROCm/rocFFT kind=compiled arch=gfx1100 opt=O3
	.text
	.amdgcn_target "amdgcn-amd-amdhsa--gfx1100"
	.amdhsa_code_object_version 6
	.protected	bluestein_single_fwd_len1715_dim1_sp_op_CI_CI ; -- Begin function bluestein_single_fwd_len1715_dim1_sp_op_CI_CI
	.globl	bluestein_single_fwd_len1715_dim1_sp_op_CI_CI
	.p2align	8
	.type	bluestein_single_fwd_len1715_dim1_sp_op_CI_CI,@function
bluestein_single_fwd_len1715_dim1_sp_op_CI_CI: ; @bluestein_single_fwd_len1715_dim1_sp_op_CI_CI
; %bb.0:
	s_load_b128 s[16:19], s[0:1], 0x28
	v_mul_u32_u24_e32 v1, 0x10c, v0
	s_mov_b32 s2, exec_lo
	v_mov_b32_e32 v43, 0
	s_delay_alu instid0(VALU_DEP_2) | instskip(NEXT) | instid1(VALU_DEP_1)
	v_lshrrev_b32_e32 v1, 16, v1
	v_add_nc_u32_e32 v42, s15, v1
	s_waitcnt lgkmcnt(0)
	s_delay_alu instid0(VALU_DEP_1)
	v_cmpx_gt_u64_e64 s[16:17], v[42:43]
	s_cbranch_execz .LBB0_15
; %bb.1:
	s_clause 0x1
	s_load_b128 s[4:7], s[0:1], 0x18
	s_load_b64 s[2:3], s[0:1], 0x0
	v_mul_lo_u16 v1, 0xf5, v1
	s_delay_alu instid0(VALU_DEP_1) | instskip(NEXT) | instid1(VALU_DEP_1)
	v_sub_nc_u16 v16, v0, v1
	v_and_b32_e32 v76, 0xffff, v16
	s_waitcnt lgkmcnt(0)
	s_load_b128 s[8:11], s[4:5], 0x0
	s_waitcnt lgkmcnt(0)
	v_mad_u64_u32 v[0:1], null, s10, v42, 0
	v_mad_u64_u32 v[2:3], null, s8, v76, 0
	s_delay_alu instid0(VALU_DEP_1) | instskip(SKIP_1) | instid1(VALU_DEP_1)
	v_mad_u64_u32 v[4:5], null, s11, v42, v[1:2]
	s_load_b64 s[10:11], s[0:1], 0x38
	v_mov_b32_e32 v1, v4
	v_lshlrev_b32_e32 v75, 3, v76
	s_delay_alu instid0(VALU_DEP_4) | instskip(SKIP_4) | instid1(VALU_DEP_1)
	v_mad_u64_u32 v[5:6], null, s9, v76, v[3:4]
	s_clause 0x1
	global_load_b64 v[43:44], v75, s[2:3]
	global_load_b64 v[45:46], v75, s[2:3] offset:2744
	v_add_co_u32 v40, s4, s2, v75
	v_add_co_ci_u32_e64 v41, null, s3, 0, s4
	v_mov_b32_e32 v3, v5
	s_delay_alu instid0(VALU_DEP_3) | instskip(SKIP_1) | instid1(VALU_DEP_4)
	v_add_co_u32 v38, vcc_lo, 0x1000, v40
	v_lshlrev_b64 v[0:1], 3, v[0:1]
	v_add_co_ci_u32_e32 v39, vcc_lo, 0, v41, vcc_lo
	v_add_co_u32 v36, vcc_lo, 0x2000, v40
	v_add_co_ci_u32_e32 v37, vcc_lo, 0, v41, vcc_lo
	v_lshlrev_b64 v[2:3], 3, v[2:3]
	v_add_co_u32 v0, vcc_lo, s18, v0
	v_add_co_ci_u32_e32 v1, vcc_lo, s19, v1, vcc_lo
	s_mul_i32 s3, s9, 0x157
	s_mul_hi_u32 s4, s8, 0x157
	s_delay_alu instid0(VALU_DEP_2)
	v_add_co_u32 v0, vcc_lo, v0, v2
	s_mul_i32 s2, s8, 0x157
	s_add_i32 s3, s4, s3
	v_add_co_ci_u32_e32 v1, vcc_lo, v1, v3, vcc_lo
	s_lshl_b64 s[12:13], s[2:3], 3
	global_load_b64 v[47:48], v[38:39], off offset:1392
	v_add_co_u32 v2, vcc_lo, v0, s12
	v_add_co_ci_u32_e32 v3, vcc_lo, s13, v1, vcc_lo
	s_delay_alu instid0(VALU_DEP_2) | instskip(NEXT) | instid1(VALU_DEP_2)
	v_add_co_u32 v4, vcc_lo, v2, s12
	v_add_co_ci_u32_e32 v5, vcc_lo, s13, v3, vcc_lo
	s_clause 0x1
	global_load_b64 v[6:7], v[0:1], off
	global_load_b64 v[2:3], v[2:3], off
	v_add_co_u32 v8, vcc_lo, v4, s12
	v_add_co_ci_u32_e32 v9, vcc_lo, s13, v5, vcc_lo
	global_load_b64 v[4:5], v[4:5], off
	v_add_co_u32 v0, vcc_lo, v8, s12
	v_add_co_ci_u32_e32 v1, vcc_lo, s13, v9, vcc_lo
	global_load_b64 v[8:9], v[8:9], off
	s_clause 0x1
	global_load_b64 v[49:50], v[36:37], off offset:40
	global_load_b64 v[51:52], v[36:37], off offset:2784
	global_load_b64 v[10:11], v[0:1], off
	s_load_b128 s[4:7], s[6:7], 0x0
	v_cmp_gt_u16_e32 vcc_lo, 0x62, v16
	s_waitcnt vmcnt(5)
	v_dual_mul_f32 v12, v7, v44 :: v_dual_mul_f32 v15, v2, v46
	v_dual_mul_f32 v14, v3, v46 :: v_dual_mul_f32 v13, v6, v44
	s_delay_alu instid0(VALU_DEP_2)
	v_fmac_f32_e32 v12, v6, v43
	s_waitcnt vmcnt(4)
	v_mul_f32_e32 v6, v5, v48
	v_fma_f32 v15, v3, v45, -v15
	v_dual_mul_f32 v3, v4, v48 :: v_dual_fmac_f32 v14, v2, v45
	s_waitcnt vmcnt(2)
	v_mul_f32_e32 v17, v8, v50
	v_mul_f32_e32 v2, v9, v50
	v_fmac_f32_e32 v6, v4, v47
	s_waitcnt vmcnt(0)
	v_mul_f32_e32 v4, v11, v52
	v_mul_f32_e32 v18, v10, v52
	v_fma_f32 v13, v7, v43, -v13
	v_fma_f32 v7, v5, v47, -v3
	v_fmac_f32_e32 v2, v8, v49
	v_fma_f32 v3, v9, v49, -v17
	v_fmac_f32_e32 v4, v10, v51
	v_fma_f32 v5, v11, v51, -v18
	ds_store_b64 v75, v[12:13]
	ds_store_b64 v75, v[14:15] offset:2744
	ds_store_b64 v75, v[6:7] offset:5488
	;; [unrolled: 1-line block ×4, first 2 shown]
	s_and_saveexec_b32 s3, vcc_lo
	s_cbranch_execz .LBB0_3
; %bb.2:
	v_mad_u64_u32 v[2:3], null, 0xffffdcc8, s8, v[0:1]
	s_mul_i32 s2, s9, 0xffffdcc8
	global_load_b64 v[4:5], v[40:41], off offset:1960
	s_sub_i32 s2, s2, s8
	s_delay_alu instid0(SALU_CYCLE_1) | instskip(SKIP_1) | instid1(VALU_DEP_1)
	v_add_nc_u32_e32 v3, s2, v3
	v_add_co_u32 v0, s2, v2, s12
	v_add_co_ci_u32_e64 v1, s2, s13, v3, s2
	s_delay_alu instid0(VALU_DEP_2) | instskip(NEXT) | instid1(VALU_DEP_1)
	v_add_co_u32 v6, s2, v0, s12
	v_add_co_ci_u32_e64 v7, s2, s13, v1, s2
	s_clause 0x1
	global_load_b64 v[8:9], v[38:39], off offset:608
	global_load_b64 v[10:11], v[38:39], off offset:3352
	global_load_b64 v[2:3], v[2:3], off
	global_load_b64 v[0:1], v[0:1], off
	global_load_b64 v[12:13], v[6:7], off
	v_add_co_u32 v6, s2, v6, s12
	s_delay_alu instid0(VALU_DEP_1) | instskip(SKIP_1) | instid1(VALU_DEP_1)
	v_add_co_ci_u32_e64 v7, s2, s13, v7, s2
	v_add_co_u32 v14, s2, 0x3000, v40
	v_add_co_ci_u32_e64 v15, s2, 0, v41, s2
	s_delay_alu instid0(VALU_DEP_4) | instskip(NEXT) | instid1(VALU_DEP_1)
	v_add_co_u32 v16, s2, v6, s12
	v_add_co_ci_u32_e64 v17, s2, s13, v7, s2
	global_load_b64 v[6:7], v[6:7], off
	s_clause 0x1
	global_load_b64 v[18:19], v[36:37], off offset:2000
	global_load_b64 v[14:15], v[14:15], off offset:648
	global_load_b64 v[16:17], v[16:17], off
	s_waitcnt vmcnt(6)
	v_mul_f32_e32 v20, v3, v5
	s_waitcnt vmcnt(5)
	v_mul_f32_e32 v22, v1, v9
	v_mul_f32_e32 v9, v0, v9
	s_delay_alu instid0(VALU_DEP_2) | instskip(NEXT) | instid1(VALU_DEP_2)
	v_dual_mul_f32 v5, v2, v5 :: v_dual_fmac_f32 v22, v0, v8
	v_fma_f32 v23, v1, v8, -v9
	s_waitcnt vmcnt(4)
	v_dual_mul_f32 v1, v12, v11 :: v_dual_fmac_f32 v20, v2, v4
	v_mul_f32_e32 v2, v13, v11
	v_fma_f32 v21, v3, v4, -v5
	s_waitcnt vmcnt(2)
	v_mul_f32_e32 v5, v6, v19
	v_mul_f32_e32 v0, v7, v19
	s_waitcnt vmcnt(0)
	v_mul_f32_e32 v4, v17, v15
	v_mul_f32_e32 v8, v16, v15
	v_fmac_f32_e32 v2, v12, v10
	v_fma_f32 v3, v13, v10, -v1
	v_fmac_f32_e32 v0, v6, v18
	v_fma_f32 v1, v7, v18, -v5
	;; [unrolled: 2-line block ×3, first 2 shown]
	ds_store_b64 v75, v[20:21] offset:1960
	ds_store_b64 v75, v[22:23] offset:4704
	;; [unrolled: 1-line block ×5, first 2 shown]
.LBB0_3:
	s_or_b32 exec_lo, exec_lo, s3
	s_waitcnt lgkmcnt(0)
	s_barrier
	buffer_gl0_inv
	ds_load_b64 v[10:11], v75
	ds_load_b64 v[12:13], v75 offset:2744
	ds_load_b64 v[14:15], v75 offset:5488
	;; [unrolled: 1-line block ×4, first 2 shown]
	s_load_b64 s[0:1], s[0:1], 0x8
                                        ; implicit-def: $vgpr0
                                        ; implicit-def: $vgpr2
                                        ; implicit-def: $vgpr4
                                        ; implicit-def: $vgpr6
                                        ; implicit-def: $vgpr8
	s_and_saveexec_b32 s2, vcc_lo
	s_cbranch_execz .LBB0_5
; %bb.4:
	ds_load_b64 v[0:1], v75 offset:1960
	ds_load_b64 v[2:3], v75 offset:4704
	;; [unrolled: 1-line block ×5, first 2 shown]
.LBB0_5:
	s_or_b32 exec_lo, exec_lo, s2
	s_waitcnt lgkmcnt(0)
	v_dual_add_f32 v20, v14, v16 :: v_dual_sub_f32 v23, v13, v19
	v_dual_add_f32 v21, v10, v12 :: v_dual_sub_f32 v24, v12, v14
	v_dual_sub_f32 v25, v18, v16 :: v_dual_add_f32 v26, v12, v18
	s_delay_alu instid0(VALU_DEP_3) | instskip(NEXT) | instid1(VALU_DEP_3)
	v_fma_f32 v20, -0.5, v20, v10
	v_add_f32_e32 v21, v21, v14
	v_sub_f32_e32 v27, v15, v17
	v_sub_f32_e32 v31, v9, v7
	v_fma_f32 v10, -0.5, v26, v10
	v_fmamk_f32 v22, v23, 0x3f737871, v20
	v_dual_fmac_f32 v20, 0xbf737871, v23 :: v_dual_add_f32 v25, v24, v25
	s_delay_alu instid0(VALU_DEP_3) | instskip(NEXT) | instid1(VALU_DEP_3)
	v_dual_add_f32 v21, v21, v16 :: v_dual_fmamk_f32 v24, v27, 0xbf737871, v10
	v_fmac_f32_e32 v22, 0x3f167918, v27
	s_delay_alu instid0(VALU_DEP_3) | instskip(SKIP_1) | instid1(VALU_DEP_4)
	v_dual_fmac_f32 v20, 0xbf167918, v27 :: v_dual_sub_f32 v29, v16, v18
	v_dual_fmac_f32 v10, 0x3f737871, v27 :: v_dual_add_f32 v27, v11, v13
	v_dual_add_f32 v26, v21, v18 :: v_dual_sub_f32 v21, v14, v12
	s_delay_alu instid0(VALU_DEP_4) | instskip(SKIP_1) | instid1(VALU_DEP_4)
	v_fmac_f32_e32 v22, 0x3e9e377a, v25
	v_fmac_f32_e32 v24, 0x3f167918, v23
	;; [unrolled: 1-line block ×3, first 2 shown]
	v_dual_add_f32 v23, v27, v15 :: v_dual_sub_f32 v18, v12, v18
	v_add_f32_e32 v29, v21, v29
	v_mul_lo_u16 v32, v76, 5
	v_add_co_u32 v28, null, 0xf5, v76
	s_delay_alu instid0(VALU_DEP_4)
	v_add_f32_e32 v12, v23, v17
	v_dual_fmac_f32 v20, 0x3e9e377a, v25 :: v_dual_add_f32 v25, v13, v19
	v_add_f32_e32 v30, v15, v17
	v_sub_f32_e32 v14, v14, v16
	v_fmac_f32_e32 v24, 0x3e9e377a, v29
	v_mul_u32_u24_e32 v77, 5, v28
	s_delay_alu instid0(VALU_DEP_4)
	v_fma_f32 v21, -0.5, v30, v11
	v_fmac_f32_e32 v11, -0.5, v25
	s_barrier
	buffer_gl0_inv
	v_dual_sub_f32 v30, v3, v5 :: v_dual_fmamk_f32 v23, v18, 0xbf737871, v21
	v_dual_sub_f32 v16, v13, v15 :: v_dual_fmac_f32 v21, 0x3f737871, v18
	v_add_f32_e32 v27, v12, v19
	v_fmamk_f32 v25, v14, 0x3f737871, v11
	s_delay_alu instid0(VALU_DEP_4)
	v_fmac_f32_e32 v23, 0xbf167918, v14
	v_fmac_f32_e32 v10, 0x3e9e377a, v29
	v_sub_f32_e32 v29, v19, v17
	v_fmac_f32_e32 v21, 0x3f167918, v14
	v_sub_f32_e32 v13, v15, v13
	v_sub_f32_e32 v15, v17, v19
	s_delay_alu instid0(VALU_DEP_4) | instskip(SKIP_3) | instid1(VALU_DEP_4)
	v_dual_fmac_f32 v11, 0xbf737871, v14 :: v_dual_add_f32 v12, v16, v29
	v_add_f32_e32 v16, v4, v6
	v_dual_fmac_f32 v25, 0xbf167918, v18 :: v_dual_add_f32 v14, v2, v8
	v_sub_f32_e32 v19, v8, v6
	v_fmac_f32_e32 v23, 0x3e9e377a, v12
	v_fmac_f32_e32 v21, 0x3e9e377a, v12
	v_fma_f32 v12, -0.5, v16, v0
	v_dual_sub_f32 v16, v2, v4 :: v_dual_add_f32 v17, v13, v15
	v_fma_f32 v55, -0.5, v14, v0
	v_sub_f32_e32 v13, v3, v9
	v_sub_f32_e32 v15, v5, v7
	s_delay_alu instid0(VALU_DEP_4) | instskip(SKIP_2) | instid1(VALU_DEP_2)
	v_dual_add_f32 v14, v16, v19 :: v_dual_sub_f32 v19, v2, v8
	v_fmac_f32_e32 v11, 0x3f167918, v18
	v_dual_sub_f32 v16, v4, v2 :: v_dual_fmac_f32 v25, 0x3e9e377a, v17
	v_dual_sub_f32 v18, v6, v8 :: v_dual_fmac_f32 v11, 0x3e9e377a, v17
	v_add_f32_e32 v17, v5, v7
	s_delay_alu instid0(VALU_DEP_2) | instskip(SKIP_1) | instid1(VALU_DEP_3)
	v_add_f32_e32 v29, v16, v18
	v_sub_f32_e32 v18, v4, v6
	v_fma_f32 v16, -0.5, v17, v1
	v_add_f32_e32 v17, v3, v9
	s_delay_alu instid0(VALU_DEP_2) | instskip(NEXT) | instid1(VALU_DEP_2)
	v_fmamk_f32 v54, v19, 0x3f737871, v16
	v_fma_f32 v56, -0.5, v17, v1
	v_fmamk_f32 v57, v15, 0xbf737871, v55
	v_fmac_f32_e32 v55, 0x3f737871, v15
	v_add_f32_e32 v17, v30, v31
	v_sub_f32_e32 v30, v5, v3
	v_fmamk_f32 v58, v18, 0x3f737871, v56
	v_dual_fmac_f32 v56, 0xbf737871, v18 :: v_dual_sub_f32 v31, v7, v9
	v_fmamk_f32 v53, v13, 0xbf737871, v12
	v_dual_fmac_f32 v57, 0x3f167918, v13 :: v_dual_fmac_f32 v54, 0x3f167918, v18
	s_delay_alu instid0(VALU_DEP_4) | instskip(NEXT) | instid1(VALU_DEP_4)
	v_dual_fmac_f32 v55, 0xbf167918, v13 :: v_dual_fmac_f32 v58, 0xbf167918, v19
	v_add_f32_e32 v30, v30, v31
	s_delay_alu instid0(VALU_DEP_4)
	v_fmac_f32_e32 v53, 0xbf167918, v15
	v_fmac_f32_e32 v56, 0x3f167918, v19
	v_and_b32_e32 v31, 0xffff, v32
	v_fmac_f32_e32 v57, 0x3e9e377a, v29
	v_fmac_f32_e32 v55, 0x3e9e377a, v29
	v_dual_fmac_f32 v53, 0x3e9e377a, v14 :: v_dual_fmac_f32 v54, 0x3e9e377a, v17
	v_fmac_f32_e32 v58, 0x3e9e377a, v30
	v_dual_fmac_f32 v56, 0x3e9e377a, v30 :: v_dual_lshlrev_b32 v79, 3, v31
	ds_store_2addr_b64 v79, v[26:27], v[22:23] offset1:1
	ds_store_2addr_b64 v79, v[24:25], v[10:11] offset0:2 offset1:3
	ds_store_b64 v79, v[20:21] offset:32
	s_and_saveexec_b32 s2, vcc_lo
	s_cbranch_execz .LBB0_7
; %bb.6:
	v_dual_mul_f32 v10, 0x3f737871, v13 :: v_dual_mul_f32 v13, 0x3f737871, v19
	v_dual_mul_f32 v11, 0x3f167918, v15 :: v_dual_add_f32 v0, v0, v2
	v_dual_add_f32 v1, v1, v3 :: v_dual_mul_f32 v14, 0x3e9e377a, v14
	s_delay_alu instid0(VALU_DEP_3) | instskip(NEXT) | instid1(VALU_DEP_2)
	v_dual_mul_f32 v2, 0x3f167918, v18 :: v_dual_sub_f32 v3, v16, v13
	v_dual_add_f32 v0, v0, v4 :: v_dual_add_f32 v1, v1, v5
	v_dual_add_f32 v5, v12, v10 :: v_dual_mul_f32 v4, 0x3e9e377a, v17
	s_delay_alu instid0(VALU_DEP_3) | instskip(NEXT) | instid1(VALU_DEP_3)
	v_sub_f32_e32 v2, v3, v2
	v_dual_add_f32 v6, v0, v6 :: v_dual_add_f32 v3, v1, v7
	s_delay_alu instid0(VALU_DEP_3) | instskip(NEXT) | instid1(VALU_DEP_2)
	v_add_f32_e32 v5, v11, v5
	v_dual_add_f32 v1, v4, v2 :: v_dual_add_f32 v2, v6, v8
	s_delay_alu instid0(VALU_DEP_3) | instskip(NEXT) | instid1(VALU_DEP_3)
	v_add_f32_e32 v3, v3, v9
	v_add_f32_e32 v0, v14, v5
	v_lshlrev_b32_e32 v4, 3, v77
	ds_store_2addr_b64 v4, v[2:3], v[0:1] offset1:1
	ds_store_2addr_b64 v4, v[57:58], v[55:56] offset0:2 offset1:3
	ds_store_b64 v4, v[53:54] offset:32
.LBB0_7:
	s_or_b32 exec_lo, exec_lo, s2
	v_and_b32_e32 v12, 0xff, v76
	s_waitcnt lgkmcnt(0)
	s_barrier
	buffer_gl0_inv
	v_mul_lo_u16 v0, 0xcd, v12
	v_mul_lo_u16 v12, 0xeb, v12
	s_delay_alu instid0(VALU_DEP_2) | instskip(NEXT) | instid1(VALU_DEP_2)
	v_lshrrev_b16 v20, 10, v0
	v_lshrrev_b16 v59, 13, v12
	s_delay_alu instid0(VALU_DEP_2) | instskip(NEXT) | instid1(VALU_DEP_2)
	v_mul_lo_u16 v0, v20, 5
	v_mul_lo_u16 v24, v59, 35
	s_delay_alu instid0(VALU_DEP_2) | instskip(NEXT) | instid1(VALU_DEP_2)
	v_sub_nc_u16 v0, v76, v0
	v_sub_nc_u16 v28, v76, v24
	s_delay_alu instid0(VALU_DEP_2) | instskip(NEXT) | instid1(VALU_DEP_1)
	v_and_b32_e32 v26, 0xff, v0
	v_mul_u32_u24_e32 v0, 6, v26
	s_delay_alu instid0(VALU_DEP_1)
	v_lshlrev_b32_e32 v0, 3, v0
	s_clause 0x2
	global_load_b128 v[8:11], v0, s[0:1]
	global_load_b128 v[4:7], v0, s[0:1] offset:16
	global_load_b128 v[0:3], v0, s[0:1] offset:32
	ds_load_2addr_b64 v[12:15], v75 offset1:245
	v_add_nc_u32_e32 v67, 0xf00, v75
	v_add_nc_u32_e32 v68, 0x1e80, v75
	ds_load_b64 v[24:25], v75 offset:11760
	s_waitcnt vmcnt(2) lgkmcnt(1)
	v_dual_mul_f32 v28, v15, v9 :: v_dual_and_b32 v63, 0xff, v28
	ds_load_2addr_b64 v[16:19], v67 offset0:10 offset1:255
	v_and_b32_e32 v27, 0xffff, v20
	ds_load_2addr_b64 v[20:23], v68 offset0:4 offset1:249
	v_mul_f32_e32 v29, v14, v9
	v_fma_f32 v14, v14, v8, -v28
	s_waitcnt vmcnt(0) lgkmcnt(0)
	s_barrier
	buffer_gl0_inv
	v_dual_fmac_f32 v29, v15, v8 :: v_dual_mul_f32 v30, v17, v11
	v_dual_mul_f32 v31, v16, v11 :: v_dual_mul_f32 v32, v19, v5
	v_mul_f32_e32 v33, v18, v5
	v_dual_mul_f32 v35, v20, v7 :: v_dual_mul_f32 v60, v23, v1
	v_dual_mul_f32 v61, v22, v1 :: v_dual_mul_f32 v62, v25, v3
	s_delay_alu instid0(VALU_DEP_3)
	v_dual_fmac_f32 v33, v19, v4 :: v_dual_mul_f32 v64, v24, v3
	v_fmac_f32_e32 v31, v17, v10
	v_mul_f32_e32 v34, v21, v7
	v_fma_f32 v15, v16, v10, -v30
	v_fma_f32 v16, v18, v4, -v32
	;; [unrolled: 1-line block ×3, first 2 shown]
	v_dual_fmac_f32 v64, v25, v2 :: v_dual_fmac_f32 v61, v23, v0
	v_fma_f32 v19, v22, v0, -v60
	v_fma_f32 v17, v20, v6, -v34
	v_fmac_f32_e32 v35, v21, v6
	s_delay_alu instid0(VALU_DEP_4)
	v_dual_add_f32 v20, v14, v18 :: v_dual_add_f32 v21, v29, v64
	v_dual_sub_f32 v14, v14, v18 :: v_dual_add_f32 v23, v31, v61
	v_add_f32_e32 v22, v15, v19
	v_dual_sub_f32 v18, v29, v64 :: v_dual_sub_f32 v15, v15, v19
	v_sub_f32_e32 v19, v31, v61
	v_dual_add_f32 v24, v16, v17 :: v_dual_add_f32 v25, v33, v35
	v_dual_sub_f32 v16, v17, v16 :: v_dual_sub_f32 v17, v35, v33
	v_dual_add_f32 v28, v22, v20 :: v_dual_add_f32 v29, v23, v21
	v_dual_sub_f32 v30, v22, v20 :: v_dual_sub_f32 v31, v23, v21
	s_delay_alu instid0(VALU_DEP_4)
	v_dual_sub_f32 v20, v20, v24 :: v_dual_sub_f32 v21, v21, v25
	v_dual_sub_f32 v22, v24, v22 :: v_dual_sub_f32 v23, v25, v23
	v_add_f32_e32 v32, v16, v15
	v_dual_add_f32 v33, v17, v19 :: v_dual_add_f32 v24, v24, v28
	v_dual_sub_f32 v34, v16, v15 :: v_dual_sub_f32 v15, v15, v14
	v_sub_f32_e32 v35, v17, v19
	v_dual_add_f32 v25, v25, v29 :: v_dual_mul_f32 v28, 0x3d64c772, v22
	v_sub_f32_e32 v16, v14, v16
	v_sub_f32_e32 v17, v18, v17
	v_dual_sub_f32 v19, v19, v18 :: v_dual_mul_f32 v20, 0x3f4a47b2, v20
	v_add_f32_e32 v14, v32, v14
	v_dual_add_f32 v18, v33, v18 :: v_dual_mul_f32 v21, 0x3f4a47b2, v21
	v_dual_mul_f32 v29, 0x3d64c772, v23 :: v_dual_add_f32 v12, v12, v24
	v_dual_mul_f32 v32, 0xbf08b237, v34 :: v_dual_mul_f32 v33, 0xbf08b237, v35
	v_dual_mul_f32 v34, 0x3f5ff5aa, v15 :: v_dual_add_f32 v13, v13, v25
	s_delay_alu instid0(VALU_DEP_4)
	v_dual_fmamk_f32 v22, v22, 0x3d64c772, v20 :: v_dual_fmamk_f32 v23, v23, 0x3d64c772, v21
	v_fma_f32 v28, 0x3f3bfb3b, v30, -v28
	v_fma_f32 v29, 0x3f3bfb3b, v31, -v29
	;; [unrolled: 1-line block ×4, first 2 shown]
	v_dual_fmamk_f32 v30, v16, 0x3eae86e6, v32 :: v_dual_fmamk_f32 v31, v17, 0x3eae86e6, v33
	v_fma_f32 v32, 0x3f5ff5aa, v15, -v32
	v_fma_f32 v33, 0x3f5ff5aa, v19, -v33
	;; [unrolled: 1-line block ×3, first 2 shown]
	v_dual_fmamk_f32 v15, v24, 0xbf955555, v12 :: v_dual_fmamk_f32 v16, v25, 0xbf955555, v13
	v_mul_f32_e32 v35, 0x3f5ff5aa, v19
	v_fmac_f32_e32 v31, 0x3ee1c552, v18
	s_delay_alu instid0(VALU_DEP_3)
	v_dual_fmac_f32 v33, 0x3ee1c552, v18 :: v_dual_add_f32 v24, v22, v15
	v_add_f32_e32 v22, v28, v15
	v_add_f32_e32 v28, v21, v16
	v_fma_f32 v35, 0xbeae86e6, v17, -v35
	v_mul_u32_u24_e32 v27, 35, v27
	v_dual_fmac_f32 v30, 0x3ee1c552, v14 :: v_dual_add_f32 v25, v23, v16
	v_dual_fmac_f32 v32, 0x3ee1c552, v14 :: v_dual_add_f32 v23, v20, v15
	;; [unrolled: 1-line block ×4, first 2 shown]
	v_add_lshl_u32 v78, v27, v26, 3
	v_mad_u64_u32 v[26:27], null, v63, 48, s[0:1]
	s_delay_alu instid0(VALU_DEP_3)
	v_dual_sub_f32 v15, v25, v30 :: v_dual_add_f32 v16, v35, v23
	v_dual_sub_f32 v17, v28, v34 :: v_dual_sub_f32 v18, v22, v33
	v_dual_add_f32 v19, v32, v21 :: v_dual_add_f32 v20, v33, v22
	v_dual_sub_f32 v21, v21, v32 :: v_dual_sub_f32 v22, v23, v35
	v_dual_add_f32 v23, v34, v28 :: v_dual_sub_f32 v24, v24, v31
	v_add_f32_e32 v25, v30, v25
	ds_store_2addr_b64 v78, v[12:13], v[14:15] offset1:5
	ds_store_2addr_b64 v78, v[16:17], v[18:19] offset0:10 offset1:15
	ds_store_2addr_b64 v78, v[20:21], v[22:23] offset0:20 offset1:25
	ds_store_b64 v78, v[24:25] offset:240
	s_waitcnt lgkmcnt(0)
	s_barrier
	buffer_gl0_inv
	s_clause 0x2
	global_load_b128 v[20:23], v[26:27], off offset:240
	global_load_b128 v[16:19], v[26:27], off offset:256
	;; [unrolled: 1-line block ×3, first 2 shown]
	ds_load_2addr_b64 v[24:27], v75 offset1:245
	ds_load_2addr_b64 v[28:31], v67 offset0:10 offset1:255
	ds_load_2addr_b64 v[32:35], v68 offset0:4 offset1:249
	v_and_b32_e32 v61, 0xffff, v59
	ds_load_b64 v[59:60], v75 offset:11760
	s_waitcnt vmcnt(0) lgkmcnt(0)
	s_barrier
	buffer_gl0_inv
	v_mul_u32_u24_e32 v64, 0xf5, v61
	v_mad_u64_u32 v[61:62], null, v76, 48, s[0:1]
	s_delay_alu instid0(VALU_DEP_2)
	v_add_lshl_u32 v80, v64, v63, 3
	v_dual_mul_f32 v64, v26, v21 :: v_dual_mul_f32 v65, v29, v23
	v_mul_f32_e32 v70, v30, v17
	v_dual_mul_f32 v66, v28, v23 :: v_dual_mul_f32 v69, v31, v17
	v_dual_mul_f32 v71, v33, v19 :: v_dual_mul_f32 v74, v34, v13
	;; [unrolled: 1-line block ×3, first 2 shown]
	v_dual_mul_f32 v81, v60, v15 :: v_dual_fmac_f32 v64, v27, v20
	v_fma_f32 v27, v28, v22, -v65
	v_fmac_f32_e32 v66, v29, v22
	v_fma_f32 v28, v30, v16, -v69
	v_fma_f32 v29, v32, v18, -v71
	v_fmac_f32_e32 v74, v35, v12
	v_mul_f32_e32 v82, v59, v15
	v_mul_f32_e32 v73, v35, v13
	v_fma_f32 v26, v26, v20, -v63
	v_fma_f32 v30, v59, v14, -v81
	v_add_f32_e32 v59, v28, v29
	v_add_f32_e32 v35, v66, v74
	v_fmac_f32_e32 v82, v60, v14
	v_fmac_f32_e32 v70, v31, v16
	v_fma_f32 v31, v34, v12, -v73
	v_fmac_f32_e32 v72, v33, v18
	s_delay_alu instid0(VALU_DEP_4) | instskip(NEXT) | instid1(VALU_DEP_3)
	v_dual_sub_f32 v28, v29, v28 :: v_dual_add_f32 v33, v64, v82
	v_add_f32_e32 v34, v27, v31
	v_sub_f32_e32 v27, v27, v31
	v_sub_f32_e32 v31, v66, v74
	v_dual_add_f32 v60, v70, v72 :: v_dual_sub_f32 v29, v72, v70
	v_add_f32_e32 v32, v26, v30
	v_sub_f32_e32 v26, v26, v30
	v_sub_f32_e32 v30, v64, v82
	v_add_f32_e32 v64, v35, v33
	v_dual_sub_f32 v66, v35, v33 :: v_dual_sub_f32 v33, v33, v60
	v_add_f32_e32 v63, v34, v32
	v_sub_f32_e32 v65, v34, v32
	v_sub_f32_e32 v35, v60, v35
	;; [unrolled: 1-line block ×3, first 2 shown]
	v_add_f32_e32 v70, v29, v31
	v_dual_sub_f32 v72, v29, v31 :: v_dual_mul_f32 v33, 0x3f4a47b2, v33
	v_dual_sub_f32 v29, v30, v29 :: v_dual_sub_f32 v34, v59, v34
	v_sub_f32_e32 v71, v28, v27
	v_dual_add_f32 v69, v28, v27 :: v_dual_sub_f32 v28, v26, v28
	v_add_f32_e32 v59, v59, v63
	v_dual_sub_f32 v27, v27, v26 :: v_dual_add_f32 v60, v60, v64
	v_mul_f32_e32 v63, 0x3d64c772, v34
	v_sub_f32_e32 v31, v31, v30
	v_dual_add_f32 v26, v69, v26 :: v_dual_mul_f32 v69, 0xbf08b237, v71
	s_delay_alu instid0(VALU_DEP_4) | instskip(SKIP_4) | instid1(VALU_DEP_3)
	v_dual_add_f32 v30, v70, v30 :: v_dual_mul_f32 v71, 0x3f5ff5aa, v27
	v_mul_f32_e32 v32, 0x3f4a47b2, v32
	v_dual_mul_f32 v64, 0x3d64c772, v35 :: v_dual_add_f32 v25, v25, v60
	v_dual_add_f32 v24, v24, v59 :: v_dual_fmamk_f32 v35, v35, 0x3d64c772, v33
	v_fma_f32 v63, 0x3f3bfb3b, v65, -v63
	v_fma_f32 v64, 0x3f3bfb3b, v66, -v64
	v_fmamk_f32 v34, v34, 0x3d64c772, v32
	v_fma_f32 v32, 0xbf3bfb3b, v65, -v32
	v_fmamk_f32 v65, v28, 0x3eae86e6, v69
	v_fma_f32 v69, 0x3f5ff5aa, v27, -v69
	v_fma_f32 v71, 0xbeae86e6, v28, -v71
	v_dual_fmamk_f32 v27, v59, 0xbf955555, v24 :: v_dual_fmamk_f32 v28, v60, 0xbf955555, v25
	v_mul_f32_e32 v70, 0xbf08b237, v72
	v_fma_f32 v33, 0xbf3bfb3b, v66, -v33
	v_mul_f32_e32 v72, 0x3f5ff5aa, v31
	s_delay_alu instid0(VALU_DEP_4) | instskip(NEXT) | instid1(VALU_DEP_4)
	v_dual_fmac_f32 v69, 0x3ee1c552, v26 :: v_dual_add_f32 v60, v35, v28
	v_dual_add_f32 v35, v32, v27 :: v_dual_fmamk_f32 v66, v29, 0x3eae86e6, v70
	v_fma_f32 v70, 0x3f5ff5aa, v31, -v70
	v_fmac_f32_e32 v65, 0x3ee1c552, v26
	v_add_f32_e32 v59, v34, v27
	v_add_f32_e32 v34, v63, v27
	v_dual_fmac_f32 v66, 0x3ee1c552, v30 :: v_dual_add_f32 v63, v33, v28
	s_delay_alu instid0(VALU_DEP_4) | instskip(SKIP_1) | instid1(VALU_DEP_3)
	v_sub_f32_e32 v27, v60, v65
	v_fma_f32 v72, 0xbeae86e6, v29, -v72
	v_dual_fmac_f32 v71, 0x3ee1c552, v26 :: v_dual_add_f32 v26, v66, v59
	v_dual_fmac_f32 v70, 0x3ee1c552, v30 :: v_dual_add_f32 v33, v64, v28
	s_delay_alu instid0(VALU_DEP_2) | instskip(SKIP_1) | instid1(VALU_DEP_3)
	v_dual_fmac_f32 v72, 0x3ee1c552, v30 :: v_dual_sub_f32 v29, v63, v71
	v_dual_sub_f32 v59, v59, v66 :: v_dual_add_f32 v60, v65, v60
	v_dual_sub_f32 v30, v34, v70 :: v_dual_add_f32 v31, v69, v33
	s_delay_alu instid0(VALU_DEP_3)
	v_dual_add_f32 v28, v72, v35 :: v_dual_sub_f32 v33, v33, v69
	v_add_f32_e32 v32, v70, v34
	v_sub_f32_e32 v34, v35, v72
	v_add_f32_e32 v35, v71, v63
	ds_store_2addr_b64 v80, v[24:25], v[26:27] offset1:35
	ds_store_2addr_b64 v80, v[28:29], v[30:31] offset0:70 offset1:105
	ds_store_2addr_b64 v80, v[32:33], v[34:35] offset0:140 offset1:175
	ds_store_b64 v80, v[59:60] offset:1680
	s_waitcnt lgkmcnt(0)
	s_barrier
	buffer_gl0_inv
	s_clause 0x2
	global_load_b128 v[32:35], v[61:62], off offset:1920
	global_load_b128 v[28:31], v[61:62], off offset:1936
	global_load_b128 v[24:27], v[61:62], off offset:1952
	ds_load_2addr_b64 v[61:64], v75 offset1:245
	ds_load_2addr_b64 v[69:72], v67 offset0:10 offset1:255
	ds_load_2addr_b64 v[81:84], v68 offset0:4 offset1:249
	ds_load_b64 v[73:74], v75 offset:11760
	v_add_co_u32 v65, s0, 0x3598, v40
	s_delay_alu instid0(VALU_DEP_1) | instskip(SKIP_1) | instid1(VALU_DEP_1)
	v_add_co_ci_u32_e64 v66, s0, 0, v41, s0
	v_add_co_u32 v59, s0, 0x3000, v40
	v_add_co_ci_u32_e64 v60, s0, 0, v41, s0
	v_add_co_u32 v85, s0, 0x4000, v40
	s_delay_alu instid0(VALU_DEP_1)
	v_add_co_ci_u32_e64 v86, s0, 0, v41, s0
	s_waitcnt vmcnt(2) lgkmcnt(2)
	v_mul_f32_e32 v89, v70, v35
	v_mul_f32_e32 v87, v64, v33
	s_waitcnt vmcnt(1) lgkmcnt(1)
	v_dual_mul_f32 v88, v63, v33 :: v_dual_mul_f32 v93, v82, v31
	v_dual_mul_f32 v90, v69, v35 :: v_dual_mul_f32 v91, v72, v29
	s_waitcnt vmcnt(0) lgkmcnt(0)
	v_dual_mul_f32 v92, v71, v29 :: v_dual_mul_f32 v97, v74, v27
	v_dual_mul_f32 v94, v81, v31 :: v_dual_mul_f32 v95, v84, v25
	v_fma_f32 v63, v63, v32, -v87
	v_fmac_f32_e32 v88, v64, v32
	v_fma_f32 v64, v69, v34, -v89
	v_fma_f32 v69, v71, v28, -v91
	;; [unrolled: 1-line block ×3, first 2 shown]
	v_fmac_f32_e32 v90, v70, v34
	v_fma_f32 v70, v81, v30, -v93
	v_fmac_f32_e32 v92, v72, v28
	v_fma_f32 v72, v83, v24, -v95
	v_mul_f32_e32 v98, v73, v27
	v_add_f32_e32 v73, v63, v71
	v_sub_f32_e32 v63, v63, v71
	s_delay_alu instid0(VALU_DEP_3) | instskip(NEXT) | instid1(VALU_DEP_1)
	v_dual_add_f32 v81, v64, v72 :: v_dual_fmac_f32 v98, v74, v26
	v_dual_fmac_f32 v94, v82, v30 :: v_dual_sub_f32 v89, v81, v73
	v_add_f32_e32 v87, v81, v73
	s_delay_alu instid0(VALU_DEP_3) | instskip(SKIP_2) | instid1(VALU_DEP_3)
	v_dual_mul_f32 v96, v83, v25 :: v_dual_sub_f32 v71, v88, v98
	v_add_f32_e32 v83, v69, v70
	v_dual_add_f32 v74, v88, v98 :: v_dual_sub_f32 v69, v70, v69
	v_fmac_f32_e32 v96, v84, v24
	s_delay_alu instid0(VALU_DEP_3) | instskip(SKIP_1) | instid1(VALU_DEP_3)
	v_dual_sub_f32 v64, v64, v72 :: v_dual_sub_f32 v73, v73, v83
	v_sub_f32_e32 v81, v83, v81
	v_dual_sub_f32 v95, v63, v69 :: v_dual_add_f32 v82, v90, v96
	v_dual_sub_f32 v72, v90, v96 :: v_dual_add_f32 v83, v83, v87
	s_delay_alu instid0(VALU_DEP_4) | instskip(SKIP_1) | instid1(VALU_DEP_4)
	v_dual_add_f32 v84, v92, v94 :: v_dual_add_f32 v91, v69, v64
	v_sub_f32_e32 v70, v94, v92
	v_dual_add_f32 v88, v82, v74 :: v_dual_sub_f32 v93, v69, v64
	v_sub_f32_e32 v64, v64, v63
	s_delay_alu instid0(VALU_DEP_3)
	v_dual_add_f32 v63, v91, v63 :: v_dual_add_f32 v92, v70, v72
	v_dual_sub_f32 v94, v70, v72 :: v_dual_add_f32 v69, v61, v83
	v_mul_f32_e32 v73, 0x3f4a47b2, v73
	v_mul_f32_e32 v87, 0x3d64c772, v81
	v_dual_mul_f32 v91, 0xbf08b237, v93 :: v_dual_sub_f32 v90, v82, v74
	v_sub_f32_e32 v74, v74, v84
	v_sub_f32_e32 v82, v84, v82
	v_dual_sub_f32 v72, v72, v71 :: v_dual_fmamk_f32 v61, v81, 0x3d64c772, v73
	v_dual_sub_f32 v96, v71, v70 :: v_dual_mul_f32 v93, 0x3f5ff5aa, v64
	v_dual_add_f32 v71, v92, v71 :: v_dual_mul_f32 v92, 0xbf08b237, v94
	v_fma_f32 v81, 0x3f3bfb3b, v89, -v87
	v_dual_fmamk_f32 v87, v95, 0x3eae86e6, v91 :: v_dual_add_f32 v84, v84, v88
	v_fma_f32 v73, 0xbf3bfb3b, v89, -v73
	s_delay_alu instid0(VALU_DEP_4) | instskip(SKIP_1) | instid1(VALU_DEP_4)
	v_fma_f32 v89, 0x3f5ff5aa, v72, -v92
	v_mul_f32_e32 v94, 0x3f5ff5aa, v72
	v_dual_fmac_f32 v87, 0x3ee1c552, v63 :: v_dual_add_f32 v70, v62, v84
	v_fma_f32 v64, 0x3f5ff5aa, v64, -v91
	s_delay_alu instid0(VALU_DEP_4)
	v_fmac_f32_e32 v89, 0x3ee1c552, v71
	v_fmamk_f32 v72, v83, 0xbf955555, v69
	v_fma_f32 v91, 0xbeae86e6, v96, -v94
	v_fmamk_f32 v83, v84, 0xbf955555, v70
	v_mul_f32_e32 v74, 0x3f4a47b2, v74
	v_mul_f32_e32 v88, 0x3d64c772, v82
	v_fmac_f32_e32 v64, 0x3ee1c552, v63
	v_fmac_f32_e32 v91, 0x3ee1c552, v71
	s_delay_alu instid0(VALU_DEP_4) | instskip(NEXT) | instid1(VALU_DEP_4)
	v_fmamk_f32 v62, v82, 0x3d64c772, v74
	v_fma_f32 v82, 0x3f3bfb3b, v90, -v88
	v_fma_f32 v74, 0xbf3bfb3b, v90, -v74
	;; [unrolled: 1-line block ×3, first 2 shown]
	s_delay_alu instid0(VALU_DEP_3) | instskip(NEXT) | instid1(VALU_DEP_3)
	v_add_f32_e32 v84, v82, v83
	v_add_f32_e32 v93, v74, v83
	s_delay_alu instid0(VALU_DEP_3) | instskip(SKIP_1) | instid1(VALU_DEP_1)
	v_dual_fmac_f32 v90, 0x3ee1c552, v63 :: v_dual_add_f32 v63, v61, v72
	v_dual_add_f32 v61, v81, v72 :: v_dual_fmamk_f32 v88, v96, 0x3eae86e6, v92
	v_dual_sub_f32 v81, v61, v89 :: v_dual_add_f32 v92, v62, v83
	v_add_f32_e32 v62, v73, v72
	v_add_f32_e32 v83, v89, v61
	v_sub_f32_e32 v74, v93, v90
	s_delay_alu instid0(VALU_DEP_3) | instskip(SKIP_2) | instid1(VALU_DEP_2)
	v_dual_sub_f32 v72, v92, v87 :: v_dual_add_f32 v73, v91, v62
	v_fmac_f32_e32 v88, 0x3ee1c552, v71
	v_sub_f32_e32 v61, v62, v91
	v_dual_add_f32 v62, v90, v93 :: v_dual_add_f32 v71, v88, v63
	v_sub_f32_e32 v63, v63, v88
	v_add_f32_e32 v82, v64, v84
	v_sub_f32_e32 v84, v84, v64
	v_add_f32_e32 v64, v87, v92
	v_add_co_u32 v87, s0, 0x5000, v40
	s_delay_alu instid0(VALU_DEP_1)
	v_add_co_ci_u32_e64 v88, s0, 0, v41, s0
	ds_store_2addr_b64 v75, v[69:70], v[71:72] offset1:245
	ds_store_2addr_b64 v67, v[73:74], v[81:82] offset0:10 offset1:255
	ds_store_2addr_b64 v68, v[83:84], v[61:62] offset0:4 offset1:249
	ds_store_b64 v75, v[63:64] offset:11760
	v_add_co_u32 v71, s0, 0x6000, v40
	s_waitcnt lgkmcnt(0)
	s_barrier
	buffer_gl0_inv
	s_clause 0x1
	global_load_b64 v[67:68], v[59:60], off offset:1432
	global_load_b64 v[69:70], v[65:66], off offset:2744
	v_add_co_ci_u32_e64 v72, s0, 0, v41, s0
	s_clause 0x2
	global_load_b64 v[73:74], v[85:86], off offset:2824
	global_load_b64 v[81:82], v[87:88], off offset:1472
	;; [unrolled: 1-line block ×3, first 2 shown]
	ds_load_b64 v[83:84], v75
	ds_load_b64 v[85:86], v75 offset:2744
	ds_load_b64 v[87:88], v75 offset:5488
	;; [unrolled: 1-line block ×4, first 2 shown]
	s_waitcnt vmcnt(4) lgkmcnt(4)
	v_mul_f32_e32 v93, v84, v68
	s_waitcnt vmcnt(3) lgkmcnt(3)
	v_dual_mul_f32 v94, v83, v68 :: v_dual_mul_f32 v95, v86, v70
	v_mul_f32_e32 v68, v85, v70
	s_waitcnt vmcnt(1) lgkmcnt(1)
	v_mul_f32_e32 v97, v90, v82
	v_mul_f32_e32 v96, v88, v74
	;; [unrolled: 1-line block ×4, first 2 shown]
	s_waitcnt vmcnt(0) lgkmcnt(0)
	v_mul_f32_e32 v98, v92, v72
	v_mul_f32_e32 v82, v91, v72
	v_fma_f32 v93, v83, v67, -v93
	v_fmac_f32_e32 v94, v84, v67
	v_fma_f32 v67, v85, v69, -v95
	v_fmac_f32_e32 v68, v86, v69
	;; [unrolled: 2-line block ×5, first 2 shown]
	ds_store_b64 v75, v[93:94]
	ds_store_b64 v75, v[67:68] offset:2744
	ds_store_b64 v75, v[69:70] offset:5488
	;; [unrolled: 1-line block ×4, first 2 shown]
	s_and_saveexec_b32 s1, vcc_lo
	s_cbranch_execz .LBB0_9
; %bb.8:
	v_add_co_u32 v67, s0, 0x1000, v65
	s_delay_alu instid0(VALU_DEP_1)
	v_add_co_ci_u32_e64 v68, s0, 0, v66, s0
	v_add_co_u32 v73, s0, 0x2000, v65
	s_clause 0x1
	global_load_b64 v[69:70], v[65:66], off offset:1960
	global_load_b64 v[71:72], v[67:68], off offset:608
	v_add_co_ci_u32_e64 v74, s0, 0, v66, s0
	v_add_co_u32 v65, s0, 0x3000, v65
	s_delay_alu instid0(VALU_DEP_1)
	v_add_co_ci_u32_e64 v66, s0, 0, v66, s0
	s_clause 0x2
	global_load_b64 v[67:68], v[67:68], off offset:3352
	global_load_b64 v[73:74], v[73:74], off offset:2000
	;; [unrolled: 1-line block ×3, first 2 shown]
	ds_load_b64 v[81:82], v75 offset:1960
	ds_load_b64 v[83:84], v75 offset:4704
	;; [unrolled: 1-line block ×5, first 2 shown]
	s_waitcnt vmcnt(4) lgkmcnt(4)
	v_mul_f32_e32 v91, v82, v70
	v_mul_f32_e32 v92, v81, v70
	s_waitcnt vmcnt(3) lgkmcnt(3)
	v_mul_f32_e32 v70, v84, v72
	s_delay_alu instid0(VALU_DEP_3) | instskip(NEXT) | instid1(VALU_DEP_3)
	v_fma_f32 v91, v81, v69, -v91
	v_dual_fmac_f32 v92, v82, v69 :: v_dual_mul_f32 v69, v83, v72
	s_waitcnt vmcnt(1) lgkmcnt(1)
	v_mul_f32_e32 v93, v88, v74
	v_dual_mul_f32 v81, v86, v68 :: v_dual_mul_f32 v82, v87, v74
	s_delay_alu instid0(VALU_DEP_3)
	v_dual_mul_f32 v72, v85, v68 :: v_dual_fmac_f32 v69, v84, v71
	s_waitcnt vmcnt(0) lgkmcnt(0)
	v_mul_f32_e32 v94, v90, v66
	v_mul_f32_e32 v74, v89, v66
	v_fma_f32 v68, v83, v71, -v70
	v_fma_f32 v71, v85, v67, -v81
	v_fmac_f32_e32 v72, v86, v67
	v_fma_f32 v81, v87, v73, -v93
	v_fmac_f32_e32 v82, v88, v73
	;; [unrolled: 2-line block ×3, first 2 shown]
	ds_store_b64 v75, v[91:92] offset:1960
	ds_store_b64 v75, v[68:69] offset:4704
	;; [unrolled: 1-line block ×5, first 2 shown]
.LBB0_9:
	s_or_b32 exec_lo, exec_lo, s1
	s_waitcnt lgkmcnt(0)
	s_barrier
	buffer_gl0_inv
	ds_load_b64 v[65:66], v75
	ds_load_b64 v[69:70], v75 offset:2744
	ds_load_b64 v[71:72], v75 offset:5488
	;; [unrolled: 1-line block ×4, first 2 shown]
	s_and_saveexec_b32 s0, vcc_lo
	s_cbranch_execz .LBB0_11
; %bb.10:
	ds_load_b64 v[61:62], v75 offset:1960
	ds_load_b64 v[63:64], v75 offset:4704
	;; [unrolled: 1-line block ×5, first 2 shown]
.LBB0_11:
	s_or_b32 exec_lo, exec_lo, s0
	s_waitcnt lgkmcnt(0)
	v_dual_add_f32 v81, v71, v73 :: v_dual_sub_f32 v84, v70, v68
	v_dual_sub_f32 v86, v72, v74 :: v_dual_sub_f32 v85, v69, v71
	v_dual_sub_f32 v87, v67, v73 :: v_dual_add_f32 v88, v69, v67
	s_delay_alu instid0(VALU_DEP_3) | instskip(SKIP_2) | instid1(VALU_DEP_3)
	v_fma_f32 v81, -0.5, v81, v65
	v_add_f32_e32 v82, v65, v69
	s_barrier
	v_fma_f32 v65, -0.5, v88, v65
	s_delay_alu instid0(VALU_DEP_2) | instskip(SKIP_2) | instid1(VALU_DEP_4)
	v_dual_fmamk_f32 v83, v84, 0xbf737871, v81 :: v_dual_add_f32 v82, v82, v71
	v_fmac_f32_e32 v81, 0x3f737871, v84
	v_dual_add_f32 v89, v85, v87 :: v_dual_add_f32 v88, v72, v74
	v_fmamk_f32 v85, v86, 0x3f737871, v65
	s_delay_alu instid0(VALU_DEP_4) | instskip(NEXT) | instid1(VALU_DEP_4)
	v_dual_add_f32 v82, v82, v73 :: v_dual_fmac_f32 v83, 0xbf167918, v86
	v_dual_sub_f32 v90, v73, v67 :: v_dual_fmac_f32 v81, 0x3f167918, v86
	s_delay_alu instid0(VALU_DEP_3) | instskip(NEXT) | instid1(VALU_DEP_3)
	v_fmac_f32_e32 v85, 0xbf167918, v84
	v_add_f32_e32 v87, v82, v67
	s_delay_alu instid0(VALU_DEP_4)
	v_fmac_f32_e32 v83, 0x3e9e377a, v89
	v_fma_f32 v82, -0.5, v88, v66
	v_sub_f32_e32 v67, v69, v67
	v_fmac_f32_e32 v65, 0xbf737871, v86
	v_add_f32_e32 v86, v66, v70
	v_add_f32_e32 v88, v70, v68
	buffer_gl0_inv
	v_dual_add_f32 v86, v86, v72 :: v_dual_fmac_f32 v81, 0x3e9e377a, v89
	v_dual_sub_f32 v89, v71, v69 :: v_dual_fmac_f32 v66, -0.5, v88
	v_sub_f32_e32 v71, v71, v73
	v_dual_sub_f32 v73, v70, v72 :: v_dual_sub_f32 v88, v68, v74
	v_fmac_f32_e32 v65, 0x3f167918, v84
	v_fmamk_f32 v84, v67, 0x3f737871, v82
	v_sub_f32_e32 v70, v72, v70
	v_dual_sub_f32 v72, v74, v68 :: v_dual_add_f32 v69, v89, v90
	v_fmac_f32_e32 v82, 0xbf737871, v67
	s_delay_alu instid0(VALU_DEP_4) | instskip(NEXT) | instid1(VALU_DEP_3)
	v_fmac_f32_e32 v84, 0x3f167918, v71
	v_dual_add_f32 v70, v70, v72 :: v_dual_fmac_f32 v85, 0x3e9e377a, v69
	v_fmac_f32_e32 v65, 0x3e9e377a, v69
	v_dual_add_f32 v69, v86, v74 :: v_dual_fmamk_f32 v86, v71, 0xbf737871, v66
	v_dual_fmac_f32 v66, 0x3f737871, v71 :: v_dual_add_f32 v73, v73, v88
	v_fmac_f32_e32 v82, 0xbf167918, v71
	s_delay_alu instid0(VALU_DEP_3) | instskip(NEXT) | instid1(VALU_DEP_4)
	v_add_f32_e32 v88, v69, v68
	v_fmac_f32_e32 v86, 0x3f167918, v67
	s_delay_alu instid0(VALU_DEP_4) | instskip(SKIP_2) | instid1(VALU_DEP_4)
	v_fmac_f32_e32 v66, 0xbf167918, v67
	v_fmac_f32_e32 v84, 0x3e9e377a, v73
	v_fmac_f32_e32 v82, 0x3e9e377a, v73
	v_fmac_f32_e32 v86, 0x3e9e377a, v70
	s_delay_alu instid0(VALU_DEP_4)
	v_fmac_f32_e32 v66, 0x3e9e377a, v70
	ds_store_2addr_b64 v79, v[87:88], v[83:84] offset1:1
	ds_store_2addr_b64 v79, v[85:86], v[65:66] offset0:2 offset1:3
	ds_store_b64 v79, v[81:82] offset:32
	s_and_saveexec_b32 s0, vcc_lo
	s_cbranch_execz .LBB0_13
; %bb.12:
	v_dual_add_f32 v65, v64, v54 :: v_dual_add_f32 v68, v58, v56
	v_dual_sub_f32 v71, v57, v55 :: v_dual_add_f32 v74, v62, v64
	v_dual_sub_f32 v67, v58, v64 :: v_dual_sub_f32 v72, v64, v58
	s_delay_alu instid0(VALU_DEP_3) | instskip(SKIP_3) | instid1(VALU_DEP_4)
	v_fma_f32 v66, -0.5, v65, v62
	v_sub_f32_e32 v69, v56, v54
	v_sub_f32_e32 v65, v63, v53
	v_fma_f32 v68, -0.5, v68, v62
	v_fmamk_f32 v70, v71, 0x3f737871, v66
	v_dual_fmac_f32 v66, 0xbf737871, v71 :: v_dual_sub_f32 v73, v54, v56
	s_delay_alu instid0(VALU_DEP_3) | instskip(NEXT) | instid1(VALU_DEP_3)
	v_dual_fmamk_f32 v62, v65, 0xbf737871, v68 :: v_dual_add_f32 v67, v67, v69
	v_fmac_f32_e32 v70, 0xbf167918, v65
	v_fmac_f32_e32 v68, 0x3f737871, v65
	s_delay_alu instid0(VALU_DEP_4) | instskip(NEXT) | instid1(VALU_DEP_4)
	v_fmac_f32_e32 v66, 0x3f167918, v65
	v_dual_fmac_f32 v62, 0xbf167918, v71 :: v_dual_add_f32 v65, v74, v58
	s_delay_alu instid0(VALU_DEP_4) | instskip(NEXT) | instid1(VALU_DEP_4)
	v_dual_add_f32 v69, v72, v73 :: v_dual_fmac_f32 v70, 0x3e9e377a, v67
	v_fmac_f32_e32 v68, 0x3f167918, v71
	v_dual_sub_f32 v71, v57, v63 :: v_dual_sub_f32 v58, v58, v56
	v_sub_f32_e32 v72, v55, v53
	v_dual_fmac_f32 v66, 0x3e9e377a, v67 :: v_dual_add_f32 v67, v63, v53
	s_delay_alu instid0(VALU_DEP_2) | instskip(SKIP_2) | instid1(VALU_DEP_4)
	v_dual_fmac_f32 v62, 0x3e9e377a, v69 :: v_dual_add_f32 v71, v71, v72
	v_sub_f32_e32 v72, v53, v55
	v_dual_fmac_f32 v68, 0x3e9e377a, v69 :: v_dual_add_f32 v69, v65, v56
	v_fma_f32 v65, -0.5, v67, v61
	v_add_f32_e32 v67, v57, v55
	s_delay_alu instid0(VALU_DEP_1) | instskip(NEXT) | instid1(VALU_DEP_4)
	v_fma_f32 v67, -0.5, v67, v61
	v_add_f32_e32 v56, v69, v54
	v_sub_f32_e32 v54, v64, v54
	v_dual_add_f32 v64, v61, v63 :: v_dual_sub_f32 v63, v63, v57
	v_fmamk_f32 v69, v58, 0xbf737871, v65
	v_fmac_f32_e32 v65, 0x3f737871, v58
	s_delay_alu instid0(VALU_DEP_3) | instskip(NEXT) | instid1(VALU_DEP_4)
	v_add_f32_e32 v57, v64, v57
	v_add_f32_e32 v63, v63, v72
	s_delay_alu instid0(VALU_DEP_2)
	v_add_f32_e32 v55, v57, v55
	v_fmamk_f32 v61, v54, 0x3f737871, v67
	v_fmac_f32_e32 v67, 0xbf737871, v54
	v_fmac_f32_e32 v69, 0x3f167918, v54
	;; [unrolled: 1-line block ×3, first 2 shown]
	v_add_f32_e32 v55, v55, v53
	v_fmac_f32_e32 v61, 0x3f167918, v58
	v_fmac_f32_e32 v67, 0xbf167918, v58
	v_lshlrev_b32_e32 v53, 3, v77
	v_fmac_f32_e32 v69, 0x3e9e377a, v71
	v_fmac_f32_e32 v65, 0x3e9e377a, v71
	;; [unrolled: 1-line block ×4, first 2 shown]
	ds_store_2addr_b64 v53, v[55:56], v[67:68] offset1:1
	ds_store_2addr_b64 v53, v[65:66], v[69:70] offset0:2 offset1:3
	ds_store_b64 v53, v[61:62] offset:32
.LBB0_13:
	s_or_b32 exec_lo, exec_lo, s0
	s_waitcnt lgkmcnt(0)
	s_barrier
	buffer_gl0_inv
	ds_load_2addr_b64 v[53:56], v75 offset1:245
	ds_load_b64 v[57:58], v75 offset:11760
	v_add_nc_u32_e32 v69, 0xf00, v75
	v_add_nc_u32_e32 v70, 0x1e80, v75
	s_mov_b32 s2, 0xde1d8e4
	s_mov_b32 s3, 0x3f431b51
	s_mul_i32 s1, s5, 0x157
	s_waitcnt lgkmcnt(0)
	v_dual_mul_f32 v71, v9, v56 :: v_dual_mul_f32 v72, v3, v58
	ds_load_2addr_b64 v[61:64], v69 offset0:10 offset1:255
	ds_load_2addr_b64 v[65:68], v70 offset0:4 offset1:249
	v_mul_f32_e32 v9, v9, v55
	s_waitcnt lgkmcnt(0)
	v_dual_fmac_f32 v71, v8, v55 :: v_dual_fmac_f32 v72, v2, v57
	s_barrier
	s_delay_alu instid0(VALU_DEP_2)
	v_fma_f32 v8, v8, v56, -v9
	v_mul_f32_e32 v3, v3, v57
	buffer_gl0_inv
	v_fma_f32 v2, v2, v58, -v3
	v_mul_f32_e32 v55, v5, v64
	v_mul_f32_e32 v73, v1, v68
	v_dual_mul_f32 v1, v1, v67 :: v_dual_mul_f32 v56, v7, v66
	v_mul_f32_e32 v9, v11, v62
	v_mul_f32_e32 v11, v11, v61
	s_delay_alu instid0(VALU_DEP_4) | instskip(NEXT) | instid1(VALU_DEP_4)
	v_fmac_f32_e32 v73, v0, v67
	v_fma_f32 v0, v0, v68, -v1
	v_dual_mul_f32 v5, v5, v63 :: v_dual_fmac_f32 v56, v6, v65
	v_fmac_f32_e32 v9, v10, v61
	v_fmac_f32_e32 v55, v4, v63
	s_delay_alu instid0(VALU_DEP_3) | instskip(SKIP_1) | instid1(VALU_DEP_1)
	v_fma_f32 v4, v4, v64, -v5
	v_mul_f32_e32 v7, v7, v65
	v_fma_f32 v5, v6, v66, -v7
	v_add_f32_e32 v6, v8, v2
	v_sub_f32_e32 v2, v8, v2
	v_fma_f32 v3, v10, v62, -v11
	v_add_f32_e32 v8, v9, v73
	v_add_f32_e32 v11, v4, v5
	;; [unrolled: 1-line block ×3, first 2 shown]
	v_sub_f32_e32 v4, v5, v4
	v_add_f32_e32 v10, v3, v0
	v_sub_f32_e32 v0, v3, v0
	v_add_f32_e32 v3, v55, v56
	s_delay_alu instid0(VALU_DEP_3)
	v_dual_sub_f32 v55, v56, v55 :: v_dual_add_f32 v56, v10, v6
	v_sub_f32_e32 v58, v10, v6
	v_dual_sub_f32 v6, v6, v11 :: v_dual_add_f32 v5, v8, v1
	v_dual_sub_f32 v10, v11, v10 :: v_dual_sub_f32 v57, v8, v1
	v_add_f32_e32 v62, v4, v0
	v_sub_f32_e32 v64, v4, v0
	s_delay_alu instid0(VALU_DEP_4) | instskip(SKIP_4) | instid1(VALU_DEP_4)
	v_dual_mul_f32 v6, 0x3f4a47b2, v6 :: v_dual_sub_f32 v61, v1, v3
	v_dual_sub_f32 v8, v3, v8 :: v_dual_sub_f32 v9, v9, v73
	v_sub_f32_e32 v7, v71, v72
	v_dual_sub_f32 v4, v2, v4 :: v_dual_add_f32 v3, v3, v5
	v_add_f32_e32 v5, v11, v56
	v_add_f32_e32 v1, v55, v9
	v_sub_f32_e32 v11, v0, v2
	v_add_f32_e32 v2, v62, v2
	v_mul_f32_e32 v56, 0x3d64c772, v10
	v_dual_mul_f32 v62, 0x3f08b237, v64 :: v_dual_sub_f32 v63, v55, v9
	s_delay_alu instid0(VALU_DEP_4) | instskip(SKIP_1) | instid1(VALU_DEP_4)
	v_mul_f32_e32 v64, 0xbf5ff5aa, v11
	v_dual_sub_f32 v9, v9, v7 :: v_dual_fmamk_f32 v10, v10, 0x3d64c772, v6
	v_fma_f32 v56, 0x3f3bfb3b, v58, -v56
	v_fma_f32 v6, 0xbf3bfb3b, v58, -v6
	v_fmamk_f32 v58, v4, 0xbeae86e6, v62
	v_dual_add_f32 v0, v53, v3 :: v_dual_mul_f32 v53, 0x3f4a47b2, v61
	v_sub_f32_e32 v55, v7, v55
	v_add_f32_e32 v7, v1, v7
	s_delay_alu instid0(VALU_DEP_4)
	v_dual_add_f32 v1, v54, v5 :: v_dual_fmac_f32 v58, 0xbee1c552, v2
	v_mul_f32_e32 v54, 0x3d64c772, v8
	v_fmamk_f32 v3, v3, 0xbf955555, v0
	v_fmamk_f32 v8, v8, 0x3d64c772, v53
	v_fma_f32 v11, 0xbf5ff5aa, v11, -v62
	v_fma_f32 v53, 0xbf3bfb3b, v57, -v53
	;; [unrolled: 1-line block ×3, first 2 shown]
	s_delay_alu instid0(VALU_DEP_3) | instskip(NEXT) | instid1(VALU_DEP_3)
	v_dual_add_f32 v62, v8, v3 :: v_dual_fmac_f32 v11, 0xbee1c552, v2
	v_add_f32_e32 v53, v53, v3
	s_delay_alu instid0(VALU_DEP_3) | instskip(SKIP_2) | instid1(VALU_DEP_3)
	v_dual_add_f32 v8, v54, v3 :: v_dual_fmamk_f32 v5, v5, 0xbf955555, v1
	v_mul_f32_e32 v61, 0x3f08b237, v63
	v_mul_f32_e32 v63, 0xbf5ff5aa, v9
	v_add_f32_e32 v54, v6, v5
	s_delay_alu instid0(VALU_DEP_3) | instskip(SKIP_1) | instid1(VALU_DEP_4)
	v_dual_sub_f32 v6, v8, v11 :: v_dual_fmamk_f32 v57, v55, 0xbeae86e6, v61
	v_fma_f32 v9, 0xbf5ff5aa, v9, -v61
	v_fma_f32 v55, 0x3eae86e6, v55, -v63
	v_fma_f32 v61, 0x3eae86e6, v4, -v64
	v_dual_add_f32 v8, v11, v8 :: v_dual_add_f32 v63, v10, v5
	v_dual_add_f32 v10, v56, v5 :: v_dual_fmac_f32 v57, 0xbee1c552, v7
	v_fmac_f32_e32 v9, 0xbee1c552, v7
	s_delay_alu instid0(VALU_DEP_4) | instskip(SKIP_1) | instid1(VALU_DEP_4)
	v_fmac_f32_e32 v61, 0xbee1c552, v2
	v_dual_fmac_f32 v55, 0xbee1c552, v7 :: v_dual_add_f32 v2, v58, v62
	v_sub_f32_e32 v3, v63, v57
	s_delay_alu instid0(VALU_DEP_4) | instskip(SKIP_1) | instid1(VALU_DEP_4)
	v_add_f32_e32 v7, v9, v10
	v_sub_f32_e32 v9, v10, v9
	v_sub_f32_e32 v5, v54, v55
	v_dual_add_f32 v11, v55, v54 :: v_dual_add_f32 v54, v57, v63
	v_add_f32_e32 v4, v61, v53
	v_dual_sub_f32 v10, v53, v61 :: v_dual_sub_f32 v53, v62, v58
	ds_store_2addr_b64 v78, v[0:1], v[2:3] offset1:5
	ds_store_2addr_b64 v78, v[4:5], v[6:7] offset0:10 offset1:15
	ds_store_2addr_b64 v78, v[8:9], v[10:11] offset0:20 offset1:25
	ds_store_b64 v78, v[53:54] offset:240
	s_waitcnt lgkmcnt(0)
	s_barrier
	buffer_gl0_inv
	ds_load_2addr_b64 v[0:3], v75 offset1:245
	ds_load_2addr_b64 v[4:7], v69 offset0:10 offset1:255
	ds_load_2addr_b64 v[8:11], v70 offset0:4 offset1:249
	ds_load_b64 v[53:54], v75 offset:11760
	s_waitcnt lgkmcnt(0)
	s_barrier
	buffer_gl0_inv
	v_mul_f32_e32 v55, v21, v3
	v_mul_f32_e32 v21, v21, v2
	s_delay_alu instid0(VALU_DEP_2) | instskip(NEXT) | instid1(VALU_DEP_2)
	v_fmac_f32_e32 v55, v20, v2
	v_fma_f32 v2, v20, v3, -v21
	v_mul_f32_e32 v3, v23, v5
	v_dual_mul_f32 v20, v23, v4 :: v_dual_mul_f32 v21, v17, v7
	v_mul_f32_e32 v17, v17, v6
	v_mul_f32_e32 v23, v19, v9
	s_delay_alu instid0(VALU_DEP_4) | instskip(NEXT) | instid1(VALU_DEP_4)
	v_fmac_f32_e32 v3, v22, v4
	v_fma_f32 v4, v22, v5, -v20
	v_fmac_f32_e32 v21, v16, v6
	v_fma_f32 v5, v16, v7, -v17
	v_dual_fmac_f32 v23, v18, v8 :: v_dual_mul_f32 v6, v15, v54
	v_mul_f32_e32 v7, v15, v53
	v_dual_mul_f32 v8, v19, v8 :: v_dual_mul_f32 v15, v13, v11
	s_delay_alu instid0(VALU_DEP_3) | instskip(NEXT) | instid1(VALU_DEP_3)
	v_dual_mul_f32 v13, v13, v10 :: v_dual_fmac_f32 v6, v14, v53
	v_fma_f32 v7, v14, v54, -v7
	s_delay_alu instid0(VALU_DEP_3) | instskip(NEXT) | instid1(VALU_DEP_4)
	v_fma_f32 v8, v18, v9, -v8
	v_fmac_f32_e32 v15, v12, v10
	s_delay_alu instid0(VALU_DEP_4) | instskip(NEXT) | instid1(VALU_DEP_4)
	v_fma_f32 v9, v12, v11, -v13
	v_dual_sub_f32 v14, v23, v21 :: v_dual_add_f32 v11, v2, v7
	s_delay_alu instid0(VALU_DEP_4) | instskip(NEXT) | instid1(VALU_DEP_3)
	v_dual_sub_f32 v2, v2, v7 :: v_dual_add_f32 v13, v5, v8
	v_add_f32_e32 v12, v4, v9
	v_sub_f32_e32 v4, v4, v9
	v_sub_f32_e32 v5, v8, v5
	v_add_f32_e32 v9, v21, v23
	s_delay_alu instid0(VALU_DEP_2) | instskip(SKIP_3) | instid1(VALU_DEP_1)
	v_add_f32_e32 v19, v5, v4
	v_dual_sub_f32 v21, v5, v4 :: v_dual_sub_f32 v4, v4, v2
	v_add_f32_e32 v7, v3, v15
	v_sub_f32_e32 v3, v3, v15
	v_sub_f32_e32 v20, v14, v3
	v_add_f32_e32 v10, v55, v6
	v_sub_f32_e32 v6, v55, v6
	s_delay_alu instid0(VALU_DEP_2) | instskip(SKIP_2) | instid1(VALU_DEP_3)
	v_add_f32_e32 v8, v7, v10
	v_sub_f32_e32 v16, v7, v10
	v_dual_sub_f32 v10, v10, v9 :: v_dual_sub_f32 v7, v9, v7
	v_add_f32_e32 v8, v9, v8
	s_delay_alu instid0(VALU_DEP_2) | instskip(NEXT) | instid1(VALU_DEP_2)
	v_mul_f32_e32 v10, 0x3f4a47b2, v10
	v_add_f32_e32 v0, v0, v8
	s_delay_alu instid0(VALU_DEP_1) | instskip(SKIP_3) | instid1(VALU_DEP_3)
	v_fmamk_f32 v8, v8, 0xbf955555, v0
	v_add_f32_e32 v15, v12, v11
	v_sub_f32_e32 v17, v12, v11
	v_dual_sub_f32 v11, v11, v13 :: v_dual_sub_f32 v12, v13, v12
	v_add_f32_e32 v9, v13, v15
	v_mul_f32_e32 v13, 0x3d64c772, v7
	s_delay_alu instid0(VALU_DEP_3) | instskip(NEXT) | instid1(VALU_DEP_4)
	v_mul_f32_e32 v11, 0x3f4a47b2, v11
	v_mul_f32_e32 v15, 0x3d64c772, v12
	v_fmamk_f32 v7, v7, 0x3d64c772, v10
	v_add_f32_e32 v1, v1, v9
	v_fma_f32 v13, 0x3f3bfb3b, v16, -v13
	v_fmamk_f32 v12, v12, 0x3d64c772, v11
	v_fma_f32 v10, 0xbf3bfb3b, v16, -v10
	s_delay_alu instid0(VALU_DEP_1) | instskip(NEXT) | instid1(VALU_DEP_1)
	v_dual_fmamk_f32 v9, v9, 0xbf955555, v1 :: v_dual_add_f32 v10, v10, v8
	v_add_f32_e32 v22, v12, v9
	v_dual_add_f32 v18, v14, v3 :: v_dual_sub_f32 v3, v3, v6
	v_sub_f32_e32 v14, v6, v14
	v_dual_add_f32 v12, v13, v8 :: v_dual_sub_f32 v5, v2, v5
	s_delay_alu instid0(VALU_DEP_3) | instskip(SKIP_3) | instid1(VALU_DEP_2)
	v_add_f32_e32 v6, v18, v6
	v_add_f32_e32 v2, v19, v2
	v_dual_mul_f32 v18, 0x3f08b237, v20 :: v_dual_mul_f32 v19, 0x3f08b237, v21
	v_dual_mul_f32 v20, 0xbf5ff5aa, v3 :: v_dual_mul_f32 v21, 0xbf5ff5aa, v4
	v_fmamk_f32 v16, v14, 0xbeae86e6, v18
	s_delay_alu instid0(VALU_DEP_2) | instskip(NEXT) | instid1(VALU_DEP_3)
	v_fma_f32 v14, 0x3eae86e6, v14, -v20
	v_fma_f32 v20, 0x3eae86e6, v5, -v21
	s_delay_alu instid0(VALU_DEP_3) | instskip(NEXT) | instid1(VALU_DEP_3)
	v_dual_add_f32 v21, v7, v8 :: v_dual_fmac_f32 v16, 0xbee1c552, v6
	v_fmac_f32_e32 v14, 0xbee1c552, v6
	s_delay_alu instid0(VALU_DEP_3) | instskip(SKIP_4) | instid1(VALU_DEP_4)
	v_fmac_f32_e32 v20, 0xbee1c552, v2
	v_fma_f32 v15, 0x3f3bfb3b, v17, -v15
	v_fma_f32 v11, 0xbf3bfb3b, v17, -v11
	v_fmamk_f32 v17, v5, 0xbeae86e6, v19
	v_fma_f32 v19, 0xbf5ff5aa, v4, -v19
	v_dual_add_f32 v4, v20, v10 :: v_dual_add_f32 v13, v15, v9
	s_delay_alu instid0(VALU_DEP_4) | instskip(NEXT) | instid1(VALU_DEP_4)
	v_add_f32_e32 v11, v11, v9
	v_fmac_f32_e32 v17, 0xbee1c552, v2
	s_delay_alu instid0(VALU_DEP_4) | instskip(NEXT) | instid1(VALU_DEP_2)
	v_dual_fmac_f32 v19, 0xbee1c552, v2 :: v_dual_sub_f32 v10, v10, v20
	v_dual_sub_f32 v5, v11, v14 :: v_dual_add_f32 v2, v17, v21
	v_fma_f32 v18, 0xbf5ff5aa, v3, -v18
	v_sub_f32_e32 v3, v22, v16
	s_delay_alu instid0(VALU_DEP_4) | instskip(NEXT) | instid1(VALU_DEP_3)
	v_dual_add_f32 v8, v19, v12 :: v_dual_add_f32 v11, v14, v11
	v_fmac_f32_e32 v18, 0xbee1c552, v6
	v_sub_f32_e32 v6, v12, v19
	v_sub_f32_e32 v12, v21, v17
	s_delay_alu instid0(VALU_DEP_3)
	v_add_f32_e32 v7, v18, v13
	v_sub_f32_e32 v9, v13, v18
	v_add_f32_e32 v13, v16, v22
	ds_store_2addr_b64 v80, v[0:1], v[2:3] offset1:35
	ds_store_2addr_b64 v80, v[4:5], v[6:7] offset0:70 offset1:105
	ds_store_2addr_b64 v80, v[8:9], v[10:11] offset0:140 offset1:175
	ds_store_b64 v80, v[12:13] offset:1680
	s_waitcnt lgkmcnt(0)
	s_barrier
	buffer_gl0_inv
	ds_load_2addr_b64 v[0:3], v75 offset1:245
	ds_load_2addr_b64 v[4:7], v69 offset0:10 offset1:255
	ds_load_2addr_b64 v[8:11], v70 offset0:4 offset1:249
	ds_load_b64 v[12:13], v75 offset:11760
	s_waitcnt lgkmcnt(3)
	v_mul_f32_e32 v14, v33, v3
	v_mul_f32_e32 v15, v33, v2
	s_waitcnt lgkmcnt(2)
	v_mul_f32_e32 v16, v29, v7
	s_waitcnt lgkmcnt(1)
	v_dual_mul_f32 v17, v29, v6 :: v_dual_mul_f32 v18, v31, v9
	v_fmac_f32_e32 v14, v32, v2
	v_fma_f32 v2, v32, v3, -v15
	v_mul_f32_e32 v3, v35, v5
	v_dual_mul_f32 v15, v35, v4 :: v_dual_fmac_f32 v16, v28, v6
	s_waitcnt lgkmcnt(0)
	v_mul_f32_e32 v6, v27, v13
	v_fmac_f32_e32 v18, v30, v8
	v_fmac_f32_e32 v3, v34, v4
	v_fma_f32 v4, v34, v5, -v15
	v_fma_f32 v5, v28, v7, -v17
	v_dual_mul_f32 v8, v31, v8 :: v_dual_mul_f32 v15, v25, v11
	v_dual_mul_f32 v17, v25, v10 :: v_dual_fmac_f32 v6, v26, v12
	s_delay_alu instid0(VALU_DEP_2) | instskip(NEXT) | instid1(VALU_DEP_3)
	v_fma_f32 v8, v30, v9, -v8
	v_fmac_f32_e32 v15, v24, v10
	s_delay_alu instid0(VALU_DEP_3) | instskip(NEXT) | instid1(VALU_DEP_4)
	v_fma_f32 v9, v24, v11, -v17
	v_add_f32_e32 v10, v14, v6
	v_dual_sub_f32 v6, v14, v6 :: v_dual_mul_f32 v7, v27, v12
	v_sub_f32_e32 v14, v18, v16
	s_delay_alu instid0(VALU_DEP_4)
	v_add_f32_e32 v12, v4, v9
	v_sub_f32_e32 v4, v4, v9
	v_add_f32_e32 v9, v16, v18
	v_fma_f32 v7, v26, v13, -v7
	v_add_f32_e32 v13, v5, v8
	v_sub_f32_e32 v5, v8, v5
	s_delay_alu instid0(VALU_DEP_3) | instskip(NEXT) | instid1(VALU_DEP_2)
	v_add_f32_e32 v11, v2, v7
	v_dual_sub_f32 v2, v2, v7 :: v_dual_add_f32 v19, v5, v4
	v_sub_f32_e32 v21, v5, v4
	s_delay_alu instid0(VALU_DEP_2) | instskip(NEXT) | instid1(VALU_DEP_3)
	v_dual_sub_f32 v5, v2, v5 :: v_dual_sub_f32 v4, v4, v2
	v_add_f32_e32 v2, v19, v2
	v_add_f32_e32 v7, v3, v15
	s_delay_alu instid0(VALU_DEP_4) | instskip(NEXT) | instid1(VALU_DEP_2)
	v_mul_f32_e32 v19, 0x3f08b237, v21
	v_dual_mul_f32 v21, 0xbf5ff5aa, v4 :: v_dual_add_f32 v8, v7, v10
	v_sub_f32_e32 v16, v7, v10
	s_delay_alu instid0(VALU_DEP_2) | instskip(NEXT) | instid1(VALU_DEP_1)
	v_dual_add_f32 v8, v9, v8 :: v_dual_sub_f32 v3, v3, v15
	v_add_f32_e32 v0, v0, v8
	s_delay_alu instid0(VALU_DEP_2) | instskip(SKIP_2) | instid1(VALU_DEP_4)
	v_add_f32_e32 v18, v14, v3
	v_dual_sub_f32 v20, v14, v3 :: v_dual_sub_f32 v3, v3, v6
	v_sub_f32_e32 v14, v6, v14
	v_fmamk_f32 v8, v8, 0xbf955555, v0
	s_delay_alu instid0(VALU_DEP_4) | instskip(NEXT) | instid1(VALU_DEP_4)
	v_dual_add_f32 v15, v12, v11 :: v_dual_add_f32 v6, v18, v6
	v_mul_f32_e32 v18, 0x3f08b237, v20
	v_mul_f32_e32 v20, 0xbf5ff5aa, v3
	v_dual_sub_f32 v10, v10, v9 :: v_dual_sub_f32 v7, v9, v7
	v_sub_f32_e32 v17, v12, v11
	v_dual_sub_f32 v11, v11, v13 :: v_dual_sub_f32 v12, v13, v12
	s_delay_alu instid0(VALU_DEP_3) | instskip(NEXT) | instid1(VALU_DEP_4)
	v_dual_add_f32 v9, v13, v15 :: v_dual_mul_f32 v10, 0x3f4a47b2, v10
	v_mul_f32_e32 v13, 0x3d64c772, v7
	s_delay_alu instid0(VALU_DEP_3) | instskip(NEXT) | instid1(VALU_DEP_3)
	v_mul_f32_e32 v15, 0x3d64c772, v12
	v_fmamk_f32 v7, v7, 0x3d64c772, v10
	s_delay_alu instid0(VALU_DEP_3) | instskip(SKIP_4) | instid1(VALU_DEP_4)
	v_fma_f32 v13, 0x3f3bfb3b, v16, -v13
	v_fma_f32 v10, 0xbf3bfb3b, v16, -v10
	v_fmamk_f32 v16, v14, 0xbeae86e6, v18
	v_fma_f32 v18, 0xbf5ff5aa, v3, -v18
	v_fma_f32 v14, 0x3eae86e6, v14, -v20
	v_dual_add_f32 v10, v10, v8 :: v_dual_add_f32 v1, v1, v9
	s_delay_alu instid0(VALU_DEP_3)
	v_fmac_f32_e32 v18, 0xbee1c552, v6
	v_mul_f32_e32 v11, 0x3f4a47b2, v11
	v_fmac_f32_e32 v16, 0xbee1c552, v6
	v_fma_f32 v15, 0x3f3bfb3b, v17, -v15
	v_fmamk_f32 v9, v9, 0xbf955555, v1
	v_fmac_f32_e32 v14, 0xbee1c552, v6
	v_fmamk_f32 v12, v12, 0x3d64c772, v11
	v_fma_f32 v11, 0xbf3bfb3b, v17, -v11
	v_fmamk_f32 v17, v5, 0xbeae86e6, v19
	v_fma_f32 v19, 0xbf5ff5aa, v4, -v19
	s_delay_alu instid0(VALU_DEP_4) | instskip(NEXT) | instid1(VALU_DEP_3)
	v_add_f32_e32 v22, v12, v9
	v_dual_add_f32 v12, v13, v8 :: v_dual_fmac_f32 v17, 0xbee1c552, v2
	s_delay_alu instid0(VALU_DEP_3) | instskip(SKIP_2) | instid1(VALU_DEP_3)
	v_fmac_f32_e32 v19, 0xbee1c552, v2
	v_add_f32_e32 v13, v15, v9
	v_add_f32_e32 v11, v11, v9
	v_dual_sub_f32 v3, v22, v16 :: v_dual_sub_f32 v6, v12, v19
	v_fma_f32 v20, 0x3eae86e6, v5, -v21
	v_add_f32_e32 v21, v7, v8
	s_delay_alu instid0(VALU_DEP_4) | instskip(SKIP_1) | instid1(VALU_DEP_4)
	v_sub_f32_e32 v5, v11, v14
	v_dual_add_f32 v7, v18, v13 :: v_dual_add_f32 v8, v19, v12
	v_fmac_f32_e32 v20, 0xbee1c552, v2
	s_delay_alu instid0(VALU_DEP_4) | instskip(SKIP_2) | instid1(VALU_DEP_4)
	v_add_f32_e32 v2, v17, v21
	v_sub_f32_e32 v9, v13, v18
	v_dual_add_f32 v11, v14, v11 :: v_dual_sub_f32 v12, v21, v17
	v_add_f32_e32 v4, v20, v10
	v_dual_sub_f32 v10, v10, v20 :: v_dual_add_f32 v13, v16, v22
	ds_store_2addr_b64 v75, v[0:1], v[2:3] offset1:245
	ds_store_2addr_b64 v69, v[4:5], v[6:7] offset0:10 offset1:255
	ds_store_2addr_b64 v70, v[8:9], v[10:11] offset0:4 offset1:249
	ds_store_b64 v75, v[12:13] offset:11760
	s_waitcnt lgkmcnt(0)
	s_barrier
	buffer_gl0_inv
	ds_load_b64 v[0:1], v75
	ds_load_b64 v[2:3], v75 offset:2744
	ds_load_b64 v[4:5], v75 offset:5488
	;; [unrolled: 1-line block ×4, first 2 shown]
	v_mad_u64_u32 v[20:21], null, s6, v42, 0
	v_mad_u64_u32 v[22:23], null, s4, v76, 0
	s_mul_hi_u32 s6, s4, 0x157
	s_delay_alu instid0(VALU_DEP_1)
	v_mad_u64_u32 v[24:25], null, s7, v42, v[21:22]
	s_add_i32 s7, s6, s1
	s_mul_i32 s6, s4, 0x157
	s_waitcnt lgkmcnt(4)
	v_mul_f32_e32 v10, v44, v1
	v_mul_f32_e32 v11, v44, v0
	s_waitcnt lgkmcnt(2)
	v_mul_f32_e32 v14, v48, v5
	v_mul_f32_e32 v12, v46, v3
	v_mul_f32_e32 v13, v46, v2
	s_waitcnt lgkmcnt(1)
	v_mul_f32_e32 v16, v50, v7
	v_dual_mul_f32 v17, v50, v6 :: v_dual_fmac_f32 v14, v47, v4
	v_fmac_f32_e32 v12, v45, v2
	v_mul_f32_e32 v4, v48, v4
	s_waitcnt lgkmcnt(0)
	v_mul_f32_e32 v18, v52, v9
	v_mul_f32_e32 v19, v52, v8
	v_fmac_f32_e32 v10, v43, v0
	v_fma_f32 v11, v43, v1, -v11
	v_fma_f32 v13, v45, v3, -v13
	;; [unrolled: 1-line block ×3, first 2 shown]
	v_fmac_f32_e32 v16, v49, v6
	v_fma_f32 v17, v49, v7, -v17
	v_fmac_f32_e32 v18, v51, v8
	v_fma_f32 v19, v51, v9, -v19
	v_cvt_f64_f32_e32 v[0:1], v10
	v_cvt_f64_f32_e32 v[2:3], v11
	v_cvt_f64_f32_e32 v[10:11], v12
	v_cvt_f64_f32_e32 v[12:13], v13
	v_cvt_f64_f32_e32 v[14:15], v14
	v_cvt_f64_f32_e32 v[4:5], v4
	v_cvt_f64_f32_e32 v[6:7], v16
	v_cvt_f64_f32_e32 v[8:9], v17
	v_cvt_f64_f32_e32 v[16:17], v18
	v_cvt_f64_f32_e32 v[18:19], v19
	v_mad_u64_u32 v[25:26], null, s5, v76, v[23:24]
	v_mov_b32_e32 v21, v24
	s_lshl_b64 s[6:7], s[6:7], 3
	s_delay_alu instid0(VALU_DEP_2)
	v_mov_b32_e32 v23, v25
	v_mul_f64 v[0:1], v[0:1], s[2:3]
	v_mul_f64 v[2:3], v[2:3], s[2:3]
	;; [unrolled: 1-line block ×10, first 2 shown]
	v_cvt_f32_f64_e32 v26, v[0:1]
	v_cvt_f32_f64_e32 v27, v[2:3]
	v_lshlrev_b64 v[0:1], 3, v[20:21]
	v_cvt_f32_f64_e32 v2, v[10:11]
	v_cvt_f32_f64_e32 v3, v[12:13]
	;; [unrolled: 1-line block ×8, first 2 shown]
	v_lshlrev_b64 v[8:9], 3, v[22:23]
	v_add_co_u32 v0, s0, s10, v0
	s_delay_alu instid0(VALU_DEP_1) | instskip(NEXT) | instid1(VALU_DEP_2)
	v_add_co_ci_u32_e64 v1, s0, s11, v1, s0
	v_add_co_u32 v8, s0, v0, v8
	s_delay_alu instid0(VALU_DEP_1) | instskip(NEXT) | instid1(VALU_DEP_2)
	v_add_co_ci_u32_e64 v9, s0, v1, v9, s0
	;; [unrolled: 3-line block ×5, first 2 shown]
	v_add_co_u32 v0, s0, v16, s6
	s_delay_alu instid0(VALU_DEP_1)
	v_add_co_ci_u32_e64 v1, s0, s7, v17, s0
	s_clause 0x4
	global_store_b64 v[8:9], v[26:27], off
	global_store_b64 v[12:13], v[2:3], off
	global_store_b64 v[14:15], v[10:11], off
	global_store_b64 v[16:17], v[4:5], off
	global_store_b64 v[0:1], v[6:7], off
	s_and_b32 exec_lo, exec_lo, vcc_lo
	s_cbranch_execz .LBB0_15
; %bb.14:
	s_clause 0x4
	global_load_b64 v[2:3], v[40:41], off offset:1960
	global_load_b64 v[4:5], v[38:39], off offset:608
	global_load_b64 v[6:7], v[38:39], off offset:3352
	global_load_b64 v[8:9], v[36:37], off offset:2000
	global_load_b64 v[10:11], v[59:60], off offset:648
	ds_load_b64 v[12:13], v75 offset:1960
	ds_load_b64 v[14:15], v75 offset:4704
	;; [unrolled: 1-line block ×5, first 2 shown]
	s_mul_i32 s0, s5, 0xffffdcc8
	s_delay_alu instid0(SALU_CYCLE_1)
	s_sub_i32 s0, s0, s4
	s_waitcnt vmcnt(3) lgkmcnt(3)
	v_dual_mul_f32 v22, v13, v3 :: v_dual_mul_f32 v23, v15, v5
	v_mul_f32_e32 v3, v12, v3
	s_waitcnt vmcnt(2) lgkmcnt(2)
	v_dual_mul_f32 v5, v14, v5 :: v_dual_mul_f32 v24, v17, v7
	v_mul_f32_e32 v7, v16, v7
	s_waitcnt vmcnt(0) lgkmcnt(0)
	v_dual_mul_f32 v25, v19, v9 :: v_dual_mul_f32 v26, v21, v11
	v_dual_mul_f32 v9, v18, v9 :: v_dual_fmac_f32 v22, v12, v2
	v_mul_f32_e32 v11, v20, v11
	v_fma_f32 v12, v2, v13, -v3
	v_dual_fmac_f32 v23, v14, v4 :: v_dual_fmac_f32 v24, v16, v6
	v_fma_f32 v13, v4, v15, -v5
	v_fma_f32 v14, v6, v17, -v7
	v_dual_fmac_f32 v25, v18, v8 :: v_dual_fmac_f32 v26, v20, v10
	v_fma_f32 v16, v8, v19, -v9
	v_fma_f32 v20, v10, v21, -v11
	v_cvt_f64_f32_e32 v[2:3], v22
	v_cvt_f64_f32_e32 v[4:5], v12
	;; [unrolled: 1-line block ×10, first 2 shown]
	v_mul_f64 v[2:3], v[2:3], s[2:3]
	v_mul_f64 v[4:5], v[4:5], s[2:3]
	;; [unrolled: 1-line block ×10, first 2 shown]
	v_cvt_f32_f64_e32 v2, v[2:3]
	v_cvt_f32_f64_e32 v3, v[4:5]
	;; [unrolled: 1-line block ×10, first 2 shown]
	v_mad_u64_u32 v[12:13], null, 0xffffdcc8, s4, v[0:1]
	s_delay_alu instid0(VALU_DEP_1) | instskip(NEXT) | instid1(VALU_DEP_2)
	v_add_nc_u32_e32 v13, s0, v13
	v_add_co_u32 v0, vcc_lo, v12, s6
	s_delay_alu instid0(VALU_DEP_2) | instskip(NEXT) | instid1(VALU_DEP_2)
	v_add_co_ci_u32_e32 v1, vcc_lo, s7, v13, vcc_lo
	v_add_co_u32 v14, vcc_lo, v0, s6
	s_delay_alu instid0(VALU_DEP_2) | instskip(NEXT) | instid1(VALU_DEP_2)
	v_add_co_ci_u32_e32 v15, vcc_lo, s7, v1, vcc_lo
	;; [unrolled: 3-line block ×3, first 2 shown]
	v_add_co_u32 v18, vcc_lo, v16, s6
	s_delay_alu instid0(VALU_DEP_2)
	v_add_co_ci_u32_e32 v19, vcc_lo, s7, v17, vcc_lo
	global_store_b64 v[12:13], v[2:3], off
	global_store_b64 v[0:1], v[4:5], off
	;; [unrolled: 1-line block ×5, first 2 shown]
.LBB0_15:
	s_nop 0
	s_sendmsg sendmsg(MSG_DEALLOC_VGPRS)
	s_endpgm
	.section	.rodata,"a",@progbits
	.p2align	6, 0x0
	.amdhsa_kernel bluestein_single_fwd_len1715_dim1_sp_op_CI_CI
		.amdhsa_group_segment_fixed_size 13720
		.amdhsa_private_segment_fixed_size 0
		.amdhsa_kernarg_size 104
		.amdhsa_user_sgpr_count 15
		.amdhsa_user_sgpr_dispatch_ptr 0
		.amdhsa_user_sgpr_queue_ptr 0
		.amdhsa_user_sgpr_kernarg_segment_ptr 1
		.amdhsa_user_sgpr_dispatch_id 0
		.amdhsa_user_sgpr_private_segment_size 0
		.amdhsa_wavefront_size32 1
		.amdhsa_uses_dynamic_stack 0
		.amdhsa_enable_private_segment 0
		.amdhsa_system_sgpr_workgroup_id_x 1
		.amdhsa_system_sgpr_workgroup_id_y 0
		.amdhsa_system_sgpr_workgroup_id_z 0
		.amdhsa_system_sgpr_workgroup_info 0
		.amdhsa_system_vgpr_workitem_id 0
		.amdhsa_next_free_vgpr 99
		.amdhsa_next_free_sgpr 20
		.amdhsa_reserve_vcc 1
		.amdhsa_float_round_mode_32 0
		.amdhsa_float_round_mode_16_64 0
		.amdhsa_float_denorm_mode_32 3
		.amdhsa_float_denorm_mode_16_64 3
		.amdhsa_dx10_clamp 1
		.amdhsa_ieee_mode 1
		.amdhsa_fp16_overflow 0
		.amdhsa_workgroup_processor_mode 1
		.amdhsa_memory_ordered 1
		.amdhsa_forward_progress 0
		.amdhsa_shared_vgpr_count 0
		.amdhsa_exception_fp_ieee_invalid_op 0
		.amdhsa_exception_fp_denorm_src 0
		.amdhsa_exception_fp_ieee_div_zero 0
		.amdhsa_exception_fp_ieee_overflow 0
		.amdhsa_exception_fp_ieee_underflow 0
		.amdhsa_exception_fp_ieee_inexact 0
		.amdhsa_exception_int_div_zero 0
	.end_amdhsa_kernel
	.text
.Lfunc_end0:
	.size	bluestein_single_fwd_len1715_dim1_sp_op_CI_CI, .Lfunc_end0-bluestein_single_fwd_len1715_dim1_sp_op_CI_CI
                                        ; -- End function
	.section	.AMDGPU.csdata,"",@progbits
; Kernel info:
; codeLenInByte = 9400
; NumSgprs: 22
; NumVgprs: 99
; ScratchSize: 0
; MemoryBound: 0
; FloatMode: 240
; IeeeMode: 1
; LDSByteSize: 13720 bytes/workgroup (compile time only)
; SGPRBlocks: 2
; VGPRBlocks: 12
; NumSGPRsForWavesPerEU: 22
; NumVGPRsForWavesPerEU: 99
; Occupancy: 12
; WaveLimiterHint : 1
; COMPUTE_PGM_RSRC2:SCRATCH_EN: 0
; COMPUTE_PGM_RSRC2:USER_SGPR: 15
; COMPUTE_PGM_RSRC2:TRAP_HANDLER: 0
; COMPUTE_PGM_RSRC2:TGID_X_EN: 1
; COMPUTE_PGM_RSRC2:TGID_Y_EN: 0
; COMPUTE_PGM_RSRC2:TGID_Z_EN: 0
; COMPUTE_PGM_RSRC2:TIDIG_COMP_CNT: 0
	.text
	.p2alignl 7, 3214868480
	.fill 96, 4, 3214868480
	.type	__hip_cuid_7157d94a3cab483d,@object ; @__hip_cuid_7157d94a3cab483d
	.section	.bss,"aw",@nobits
	.globl	__hip_cuid_7157d94a3cab483d
__hip_cuid_7157d94a3cab483d:
	.byte	0                               ; 0x0
	.size	__hip_cuid_7157d94a3cab483d, 1

	.ident	"AMD clang version 19.0.0git (https://github.com/RadeonOpenCompute/llvm-project roc-6.4.0 25133 c7fe45cf4b819c5991fe208aaa96edf142730f1d)"
	.section	".note.GNU-stack","",@progbits
	.addrsig
	.addrsig_sym __hip_cuid_7157d94a3cab483d
	.amdgpu_metadata
---
amdhsa.kernels:
  - .args:
      - .actual_access:  read_only
        .address_space:  global
        .offset:         0
        .size:           8
        .value_kind:     global_buffer
      - .actual_access:  read_only
        .address_space:  global
        .offset:         8
        .size:           8
        .value_kind:     global_buffer
      - .actual_access:  read_only
        .address_space:  global
        .offset:         16
        .size:           8
        .value_kind:     global_buffer
      - .actual_access:  read_only
        .address_space:  global
        .offset:         24
        .size:           8
        .value_kind:     global_buffer
      - .actual_access:  read_only
        .address_space:  global
        .offset:         32
        .size:           8
        .value_kind:     global_buffer
      - .offset:         40
        .size:           8
        .value_kind:     by_value
      - .address_space:  global
        .offset:         48
        .size:           8
        .value_kind:     global_buffer
      - .address_space:  global
        .offset:         56
        .size:           8
        .value_kind:     global_buffer
      - .address_space:  global
        .offset:         64
        .size:           8
        .value_kind:     global_buffer
      - .address_space:  global
        .offset:         72
        .size:           8
        .value_kind:     global_buffer
      - .offset:         80
        .size:           4
        .value_kind:     by_value
      - .address_space:  global
        .offset:         88
        .size:           8
        .value_kind:     global_buffer
      - .address_space:  global
        .offset:         96
        .size:           8
        .value_kind:     global_buffer
    .group_segment_fixed_size: 13720
    .kernarg_segment_align: 8
    .kernarg_segment_size: 104
    .language:       OpenCL C
    .language_version:
      - 2
      - 0
    .max_flat_workgroup_size: 245
    .name:           bluestein_single_fwd_len1715_dim1_sp_op_CI_CI
    .private_segment_fixed_size: 0
    .sgpr_count:     22
    .sgpr_spill_count: 0
    .symbol:         bluestein_single_fwd_len1715_dim1_sp_op_CI_CI.kd
    .uniform_work_group_size: 1
    .uses_dynamic_stack: false
    .vgpr_count:     99
    .vgpr_spill_count: 0
    .wavefront_size: 32
    .workgroup_processor_mode: 1
amdhsa.target:   amdgcn-amd-amdhsa--gfx1100
amdhsa.version:
  - 1
  - 2
...

	.end_amdgpu_metadata
